;; amdgpu-corpus repo=ROCm/rocFFT kind=compiled arch=gfx1201 opt=O3
	.text
	.amdgcn_target "amdgcn-amd-amdhsa--gfx1201"
	.amdhsa_code_object_version 6
	.protected	fft_rtc_fwd_len612_factors_17_3_6_2_wgs_51_tpt_51_halfLds_sp_ip_CI_sbrr_dirReg ; -- Begin function fft_rtc_fwd_len612_factors_17_3_6_2_wgs_51_tpt_51_halfLds_sp_ip_CI_sbrr_dirReg
	.globl	fft_rtc_fwd_len612_factors_17_3_6_2_wgs_51_tpt_51_halfLds_sp_ip_CI_sbrr_dirReg
	.p2align	8
	.type	fft_rtc_fwd_len612_factors_17_3_6_2_wgs_51_tpt_51_halfLds_sp_ip_CI_sbrr_dirReg,@function
fft_rtc_fwd_len612_factors_17_3_6_2_wgs_51_tpt_51_halfLds_sp_ip_CI_sbrr_dirReg: ; @fft_rtc_fwd_len612_factors_17_3_6_2_wgs_51_tpt_51_halfLds_sp_ip_CI_sbrr_dirReg
; %bb.0:
	s_clause 0x2
	s_load_b64 s[12:13], s[0:1], 0x18
	s_load_b128 s[4:7], s[0:1], 0x0
	s_load_b64 s[10:11], s[0:1], 0x50
	v_mul_u32_u24_e32 v1, 0x506, v0
	v_mov_b32_e32 v3, 0
	s_delay_alu instid0(VALU_DEP_2) | instskip(NEXT) | instid1(VALU_DEP_1)
	v_lshrrev_b32_e32 v1, 16, v1
	v_add_nc_u32_e32 v5, ttmp9, v1
	v_mov_b32_e32 v1, 0
	v_mov_b32_e32 v2, 0
	;; [unrolled: 1-line block ×3, first 2 shown]
	s_wait_kmcnt 0x0
	s_load_b64 s[8:9], s[12:13], 0x0
	v_cmp_lt_u64_e64 s2, s[6:7], 2
	s_delay_alu instid0(VALU_DEP_1)
	s_and_b32 vcc_lo, exec_lo, s2
	s_cbranch_vccnz .LBB0_8
; %bb.1:
	s_load_b64 s[2:3], s[0:1], 0x10
	v_mov_b32_e32 v1, 0
	v_mov_b32_e32 v2, 0
	s_add_nc_u64 s[14:15], s[12:13], 8
	s_mov_b64 s[16:17], 1
	s_wait_kmcnt 0x0
	s_add_nc_u64 s[18:19], s[2:3], 8
	s_mov_b32 s3, 0
.LBB0_2:                                ; =>This Inner Loop Header: Depth=1
	s_load_b64 s[20:21], s[18:19], 0x0
                                        ; implicit-def: $vgpr7_vgpr8
	s_mov_b32 s2, exec_lo
	s_wait_kmcnt 0x0
	v_or_b32_e32 v4, s21, v6
	s_delay_alu instid0(VALU_DEP_1)
	v_cmpx_ne_u64_e32 0, v[3:4]
	s_wait_alu 0xfffe
	s_xor_b32 s22, exec_lo, s2
	s_cbranch_execz .LBB0_4
; %bb.3:                                ;   in Loop: Header=BB0_2 Depth=1
	s_cvt_f32_u32 s2, s20
	s_cvt_f32_u32 s23, s21
	s_sub_nc_u64 s[26:27], 0, s[20:21]
	s_wait_alu 0xfffe
	s_delay_alu instid0(SALU_CYCLE_1) | instskip(SKIP_1) | instid1(SALU_CYCLE_2)
	s_fmamk_f32 s2, s23, 0x4f800000, s2
	s_wait_alu 0xfffe
	v_s_rcp_f32 s2, s2
	s_delay_alu instid0(TRANS32_DEP_1) | instskip(SKIP_1) | instid1(SALU_CYCLE_2)
	s_mul_f32 s2, s2, 0x5f7ffffc
	s_wait_alu 0xfffe
	s_mul_f32 s23, s2, 0x2f800000
	s_wait_alu 0xfffe
	s_delay_alu instid0(SALU_CYCLE_2) | instskip(SKIP_1) | instid1(SALU_CYCLE_2)
	s_trunc_f32 s23, s23
	s_wait_alu 0xfffe
	s_fmamk_f32 s2, s23, 0xcf800000, s2
	s_cvt_u32_f32 s25, s23
	s_wait_alu 0xfffe
	s_delay_alu instid0(SALU_CYCLE_1) | instskip(SKIP_1) | instid1(SALU_CYCLE_2)
	s_cvt_u32_f32 s24, s2
	s_wait_alu 0xfffe
	s_mul_u64 s[28:29], s[26:27], s[24:25]
	s_wait_alu 0xfffe
	s_mul_hi_u32 s31, s24, s29
	s_mul_i32 s30, s24, s29
	s_mul_hi_u32 s2, s24, s28
	s_mul_i32 s33, s25, s28
	s_wait_alu 0xfffe
	s_add_nc_u64 s[30:31], s[2:3], s[30:31]
	s_mul_hi_u32 s23, s25, s28
	s_mul_hi_u32 s34, s25, s29
	s_add_co_u32 s2, s30, s33
	s_wait_alu 0xfffe
	s_add_co_ci_u32 s2, s31, s23
	s_mul_i32 s28, s25, s29
	s_add_co_ci_u32 s29, s34, 0
	s_wait_alu 0xfffe
	s_add_nc_u64 s[28:29], s[2:3], s[28:29]
	s_wait_alu 0xfffe
	v_add_co_u32 v4, s2, s24, s28
	s_delay_alu instid0(VALU_DEP_1) | instskip(SKIP_1) | instid1(VALU_DEP_1)
	s_cmp_lg_u32 s2, 0
	s_add_co_ci_u32 s25, s25, s29
	v_readfirstlane_b32 s24, v4
	s_wait_alu 0xfffe
	s_delay_alu instid0(VALU_DEP_1)
	s_mul_u64 s[26:27], s[26:27], s[24:25]
	s_wait_alu 0xfffe
	s_mul_hi_u32 s29, s24, s27
	s_mul_i32 s28, s24, s27
	s_mul_hi_u32 s2, s24, s26
	s_mul_i32 s30, s25, s26
	s_wait_alu 0xfffe
	s_add_nc_u64 s[28:29], s[2:3], s[28:29]
	s_mul_hi_u32 s23, s25, s26
	s_mul_hi_u32 s24, s25, s27
	s_wait_alu 0xfffe
	s_add_co_u32 s2, s28, s30
	s_add_co_ci_u32 s2, s29, s23
	s_mul_i32 s26, s25, s27
	s_add_co_ci_u32 s27, s24, 0
	s_wait_alu 0xfffe
	s_add_nc_u64 s[26:27], s[2:3], s[26:27]
	s_wait_alu 0xfffe
	v_add_co_u32 v4, s2, v4, s26
	s_delay_alu instid0(VALU_DEP_1) | instskip(SKIP_1) | instid1(VALU_DEP_1)
	s_cmp_lg_u32 s2, 0
	s_add_co_ci_u32 s2, s25, s27
	v_mul_hi_u32 v13, v5, v4
	s_wait_alu 0xfffe
	v_mad_co_u64_u32 v[7:8], null, v5, s2, 0
	v_mad_co_u64_u32 v[9:10], null, v6, v4, 0
	;; [unrolled: 1-line block ×3, first 2 shown]
	s_delay_alu instid0(VALU_DEP_3) | instskip(SKIP_1) | instid1(VALU_DEP_4)
	v_add_co_u32 v4, vcc_lo, v13, v7
	s_wait_alu 0xfffd
	v_add_co_ci_u32_e32 v7, vcc_lo, 0, v8, vcc_lo
	s_delay_alu instid0(VALU_DEP_2) | instskip(SKIP_1) | instid1(VALU_DEP_2)
	v_add_co_u32 v4, vcc_lo, v4, v9
	s_wait_alu 0xfffd
	v_add_co_ci_u32_e32 v4, vcc_lo, v7, v10, vcc_lo
	s_wait_alu 0xfffd
	v_add_co_ci_u32_e32 v7, vcc_lo, 0, v12, vcc_lo
	s_delay_alu instid0(VALU_DEP_2) | instskip(SKIP_1) | instid1(VALU_DEP_2)
	v_add_co_u32 v4, vcc_lo, v4, v11
	s_wait_alu 0xfffd
	v_add_co_ci_u32_e32 v9, vcc_lo, 0, v7, vcc_lo
	s_delay_alu instid0(VALU_DEP_2) | instskip(SKIP_1) | instid1(VALU_DEP_3)
	v_mul_lo_u32 v10, s21, v4
	v_mad_co_u64_u32 v[7:8], null, s20, v4, 0
	v_mul_lo_u32 v11, s20, v9
	s_delay_alu instid0(VALU_DEP_2) | instskip(NEXT) | instid1(VALU_DEP_2)
	v_sub_co_u32 v7, vcc_lo, v5, v7
	v_add3_u32 v8, v8, v11, v10
	s_delay_alu instid0(VALU_DEP_1) | instskip(SKIP_1) | instid1(VALU_DEP_1)
	v_sub_nc_u32_e32 v10, v6, v8
	s_wait_alu 0xfffd
	v_subrev_co_ci_u32_e64 v10, s2, s21, v10, vcc_lo
	v_add_co_u32 v11, s2, v4, 2
	s_wait_alu 0xf1ff
	v_add_co_ci_u32_e64 v12, s2, 0, v9, s2
	v_sub_co_u32 v13, s2, v7, s20
	v_sub_co_ci_u32_e32 v8, vcc_lo, v6, v8, vcc_lo
	s_wait_alu 0xf1ff
	v_subrev_co_ci_u32_e64 v10, s2, 0, v10, s2
	s_delay_alu instid0(VALU_DEP_3) | instskip(NEXT) | instid1(VALU_DEP_3)
	v_cmp_le_u32_e32 vcc_lo, s20, v13
	v_cmp_eq_u32_e64 s2, s21, v8
	s_wait_alu 0xfffd
	v_cndmask_b32_e64 v13, 0, -1, vcc_lo
	v_cmp_le_u32_e32 vcc_lo, s21, v10
	s_wait_alu 0xfffd
	v_cndmask_b32_e64 v14, 0, -1, vcc_lo
	v_cmp_le_u32_e32 vcc_lo, s20, v7
	;; [unrolled: 3-line block ×3, first 2 shown]
	s_wait_alu 0xfffd
	v_cndmask_b32_e64 v15, 0, -1, vcc_lo
	v_cmp_eq_u32_e32 vcc_lo, s21, v10
	s_wait_alu 0xf1ff
	s_delay_alu instid0(VALU_DEP_2)
	v_cndmask_b32_e64 v7, v15, v7, s2
	s_wait_alu 0xfffd
	v_cndmask_b32_e32 v10, v14, v13, vcc_lo
	v_add_co_u32 v13, vcc_lo, v4, 1
	s_wait_alu 0xfffd
	v_add_co_ci_u32_e32 v14, vcc_lo, 0, v9, vcc_lo
	s_delay_alu instid0(VALU_DEP_3) | instskip(SKIP_2) | instid1(VALU_DEP_3)
	v_cmp_ne_u32_e32 vcc_lo, 0, v10
	s_wait_alu 0xfffd
	v_cndmask_b32_e32 v10, v13, v11, vcc_lo
	v_cndmask_b32_e32 v8, v14, v12, vcc_lo
	v_cmp_ne_u32_e32 vcc_lo, 0, v7
	s_wait_alu 0xfffd
	s_delay_alu instid0(VALU_DEP_2)
	v_dual_cndmask_b32 v7, v4, v10 :: v_dual_cndmask_b32 v8, v9, v8
.LBB0_4:                                ;   in Loop: Header=BB0_2 Depth=1
	s_wait_alu 0xfffe
	s_and_not1_saveexec_b32 s2, s22
	s_cbranch_execz .LBB0_6
; %bb.5:                                ;   in Loop: Header=BB0_2 Depth=1
	v_cvt_f32_u32_e32 v4, s20
	s_sub_co_i32 s22, 0, s20
	s_delay_alu instid0(VALU_DEP_1) | instskip(NEXT) | instid1(TRANS32_DEP_1)
	v_rcp_iflag_f32_e32 v4, v4
	v_mul_f32_e32 v4, 0x4f7ffffe, v4
	s_delay_alu instid0(VALU_DEP_1) | instskip(SKIP_1) | instid1(VALU_DEP_1)
	v_cvt_u32_f32_e32 v4, v4
	s_wait_alu 0xfffe
	v_mul_lo_u32 v7, s22, v4
	s_delay_alu instid0(VALU_DEP_1) | instskip(NEXT) | instid1(VALU_DEP_1)
	v_mul_hi_u32 v7, v4, v7
	v_add_nc_u32_e32 v4, v4, v7
	s_delay_alu instid0(VALU_DEP_1) | instskip(NEXT) | instid1(VALU_DEP_1)
	v_mul_hi_u32 v4, v5, v4
	v_mul_lo_u32 v7, v4, s20
	v_add_nc_u32_e32 v8, 1, v4
	s_delay_alu instid0(VALU_DEP_2) | instskip(NEXT) | instid1(VALU_DEP_1)
	v_sub_nc_u32_e32 v7, v5, v7
	v_subrev_nc_u32_e32 v9, s20, v7
	v_cmp_le_u32_e32 vcc_lo, s20, v7
	s_wait_alu 0xfffd
	s_delay_alu instid0(VALU_DEP_2) | instskip(NEXT) | instid1(VALU_DEP_1)
	v_dual_cndmask_b32 v7, v7, v9 :: v_dual_cndmask_b32 v4, v4, v8
	v_cmp_le_u32_e32 vcc_lo, s20, v7
	s_delay_alu instid0(VALU_DEP_2) | instskip(SKIP_1) | instid1(VALU_DEP_1)
	v_add_nc_u32_e32 v8, 1, v4
	s_wait_alu 0xfffd
	v_dual_cndmask_b32 v7, v4, v8 :: v_dual_mov_b32 v8, v3
.LBB0_6:                                ;   in Loop: Header=BB0_2 Depth=1
	s_wait_alu 0xfffe
	s_or_b32 exec_lo, exec_lo, s2
	s_load_b64 s[22:23], s[14:15], 0x0
	s_delay_alu instid0(VALU_DEP_1)
	v_mul_lo_u32 v4, v8, s20
	v_mul_lo_u32 v11, v7, s21
	v_mad_co_u64_u32 v[9:10], null, v7, s20, 0
	s_add_nc_u64 s[16:17], s[16:17], 1
	s_add_nc_u64 s[14:15], s[14:15], 8
	s_wait_alu 0xfffe
	v_cmp_ge_u64_e64 s2, s[16:17], s[6:7]
	s_add_nc_u64 s[18:19], s[18:19], 8
	s_delay_alu instid0(VALU_DEP_2) | instskip(NEXT) | instid1(VALU_DEP_3)
	v_add3_u32 v4, v10, v11, v4
	v_sub_co_u32 v5, vcc_lo, v5, v9
	s_wait_alu 0xfffd
	s_delay_alu instid0(VALU_DEP_2) | instskip(SKIP_3) | instid1(VALU_DEP_2)
	v_sub_co_ci_u32_e32 v4, vcc_lo, v6, v4, vcc_lo
	s_and_b32 vcc_lo, exec_lo, s2
	s_wait_kmcnt 0x0
	v_mul_lo_u32 v6, s23, v5
	v_mul_lo_u32 v4, s22, v4
	v_mad_co_u64_u32 v[1:2], null, s22, v5, v[1:2]
	s_delay_alu instid0(VALU_DEP_1)
	v_add3_u32 v2, v6, v2, v4
	s_wait_alu 0xfffe
	s_cbranch_vccnz .LBB0_9
; %bb.7:                                ;   in Loop: Header=BB0_2 Depth=1
	v_dual_mov_b32 v5, v7 :: v_dual_mov_b32 v6, v8
	s_branch .LBB0_2
.LBB0_8:
	v_dual_mov_b32 v8, v6 :: v_dual_mov_b32 v7, v5
.LBB0_9:
	s_lshl_b64 s[2:3], s[6:7], 3
	v_mul_hi_u32 v3, 0x5050506, v0
	s_wait_alu 0xfffe
	s_add_nc_u64 s[2:3], s[12:13], s[2:3]
	v_dual_mov_b32 v23, 0 :: v_dual_mov_b32 v22, 0
	s_load_b64 s[2:3], s[2:3], 0x0
	s_load_b64 s[0:1], s[0:1], 0x20
                                        ; implicit-def: $vgpr35
                                        ; implicit-def: $vgpr27
                                        ; implicit-def: $vgpr19
                                        ; implicit-def: $vgpr21
                                        ; implicit-def: $vgpr15
                                        ; implicit-def: $vgpr11
                                        ; implicit-def: $vgpr13
                                        ; implicit-def: $vgpr47
                                        ; implicit-def: $vgpr49
                                        ; implicit-def: $vgpr45
                                        ; implicit-def: $vgpr33
                                        ; implicit-def: $vgpr25
                                        ; implicit-def: $vgpr17
                                        ; implicit-def: $vgpr9
	s_delay_alu instid0(VALU_DEP_2) | instskip(NEXT) | instid1(VALU_DEP_1)
	v_mul_u32_u24_e32 v3, 51, v3
	v_sub_nc_u32_e32 v0, v0, v3
	s_wait_kmcnt 0x0
	v_mul_lo_u32 v4, s2, v8
	v_mul_lo_u32 v5, s3, v7
	v_mad_co_u64_u32 v[1:2], null, s2, v7, v[1:2]
	v_cmp_gt_u64_e32 vcc_lo, s[0:1], v[7:8]
	v_cmp_gt_u32_e64 s0, 36, v0
                                        ; implicit-def: $vgpr7
	s_delay_alu instid0(VALU_DEP_1) | instskip(NEXT) | instid1(VALU_DEP_3)
	s_and_b32 s1, vcc_lo, s0
	v_add3_u32 v2, v5, v2, v4
                                        ; implicit-def: $vgpr5
	s_delay_alu instid0(VALU_DEP_1)
	v_lshlrev_b64_e32 v[2:3], 3, v[1:2]
	s_wait_alu 0xfffe
	s_and_saveexec_b32 s2, s1
	s_cbranch_execz .LBB0_11
; %bb.10:
	v_add_nc_u32_e32 v19, 0xb4, v0
	v_mad_co_u64_u32 v[4:5], null, s8, v0, 0
	v_add_nc_u32_e32 v12, 36, v0
	v_add_nc_u32_e32 v25, 0xfc, v0
	s_delay_alu instid0(VALU_DEP_4) | instskip(SKIP_4) | instid1(VALU_DEP_4)
	v_mad_co_u64_u32 v[16:17], null, s8, v19, 0
	v_add_nc_u32_e32 v13, 0x48, v0
	v_add_co_u32 v44, s1, s10, v2
	v_mov_b32_e32 v1, v5
	v_mad_co_u64_u32 v[6:7], null, s8, v12, 0
	v_mad_co_u64_u32 v[8:9], null, s8, v13, 0
	s_delay_alu instid0(VALU_DEP_3) | instskip(SKIP_1) | instid1(VALU_DEP_4)
	v_mad_co_u64_u32 v[10:11], null, s9, v0, v[1:2]
	v_add_nc_u32_e32 v14, 0x6c, v0
	v_dual_mov_b32 v1, v7 :: v_dual_add_nc_u32 v18, 0x90, v0
	v_mad_co_u64_u32 v[20:21], null, s8, v25, 0
	v_mov_b32_e32 v7, v9
	v_dual_mov_b32 v5, v10 :: v_dual_add_nc_u32 v24, 0xd8, v0
	s_delay_alu instid0(VALU_DEP_4) | instskip(NEXT) | instid1(VALU_DEP_3)
	v_mad_co_u64_u32 v[11:12], null, s9, v12, v[1:2]
	v_mad_co_u64_u32 v[9:10], null, s9, v13, v[7:8]
	;; [unrolled: 1-line block ×3, first 2 shown]
	s_delay_alu instid0(VALU_DEP_4)
	v_lshlrev_b64_e32 v[4:5], 3, v[4:5]
	s_wait_alu 0xf1ff
	v_add_co_ci_u32_e64 v45, s1, s11, v3, s1
	v_mov_b32_e32 v7, v11
	v_lshlrev_b64_e32 v[8:9], 3, v[8:9]
	v_add_nc_u32_e32 v41, 0x1f8, v0
	v_mov_b32_e32 v1, v13
	v_add_co_u32 v4, s1, v44, v4
	v_lshlrev_b64_e32 v[6:7], 3, v[6:7]
	s_wait_alu 0xf1ff
	v_add_co_ci_u32_e64 v5, s1, v45, v5, s1
	v_mad_co_u64_u32 v[10:11], null, s9, v14, v[1:2]
	v_mad_co_u64_u32 v[14:15], null, s8, v18, 0
	s_delay_alu instid0(VALU_DEP_4)
	v_add_co_u32 v6, s1, v44, v6
	v_add_nc_u32_e32 v32, 0x168, v0
	s_wait_alu 0xf1ff
	v_add_co_ci_u32_e64 v7, s1, v45, v7, s1
	v_mov_b32_e32 v13, v10
	v_dual_mov_b32 v1, v15 :: v_dual_mov_b32 v10, v17
	v_add_co_u32 v8, s1, v44, v8
	s_delay_alu instid0(VALU_DEP_3) | instskip(NEXT) | instid1(VALU_DEP_3)
	v_lshlrev_b64_e32 v[11:12], 3, v[12:13]
	v_mad_co_u64_u32 v[17:18], null, s9, v18, v[1:2]
	s_wait_alu 0xf1ff
	v_add_co_ci_u32_e64 v9, s1, v45, v9, s1
	v_add_nc_u32_e32 v38, 0x1d4, v0
	s_delay_alu instid0(VALU_DEP_4)
	v_mad_co_u64_u32 v[18:19], null, s9, v19, v[10:11]
	v_add_co_u32 v10, s1, v44, v11
	s_wait_alu 0xf1ff
	v_add_co_ci_u32_e64 v11, s1, v45, v12, s1
	v_mad_co_u64_u32 v[12:13], null, s8, v24, 0
	v_mov_b32_e32 v15, v17
	v_dual_mov_b32 v17, v18 :: v_dual_add_nc_u32 v46, 0x21c, v0
	s_clause 0x3
	global_load_b64 v[22:23], v[4:5], off
	global_load_b64 v[34:35], v[6:7], off
	;; [unrolled: 1-line block ×4, first 2 shown]
	v_mov_b32_e32 v8, v21
	v_lshlrev_b64_e32 v[4:5], 3, v[14:15]
	v_dual_mov_b32 v1, v13 :: v_dual_add_nc_u32 v14, 0x120, v0
	v_lshlrev_b64_e32 v[6:7], 3, v[16:17]
	v_add_nc_u32_e32 v15, 0x144, v0
	v_or_b32_e32 v47, 0x240, v0
	s_delay_alu instid0(VALU_DEP_4) | instskip(SKIP_4) | instid1(VALU_DEP_4)
	v_mad_co_u64_u32 v[9:10], null, s9, v24, v[1:2]
	v_mad_co_u64_u32 v[16:17], null, s8, v14, 0
	v_add_co_u32 v4, s1, v44, v4
	s_wait_alu 0xf1ff
	v_add_co_ci_u32_e64 v5, s1, v45, v5, s1
	v_mad_co_u64_u32 v[10:11], null, s9, v25, v[8:9]
	v_mov_b32_e32 v13, v9
	v_mov_b32_e32 v1, v17
	v_mad_co_u64_u32 v[24:25], null, s8, v15, 0
	v_add_co_u32 v6, s1, v44, v6
	s_delay_alu instid0(VALU_DEP_4) | instskip(NEXT) | instid1(VALU_DEP_4)
	v_lshlrev_b64_e32 v[8:9], 3, v[12:13]
	v_mad_co_u64_u32 v[12:13], null, s9, v14, v[1:2]
	v_mov_b32_e32 v21, v10
	v_mov_b32_e32 v1, v25
	s_wait_alu 0xf1ff
	v_add_co_ci_u32_e64 v7, s1, v45, v7, s1
	v_add_co_u32 v8, s1, v44, v8
	v_lshlrev_b64_e32 v[10:11], 3, v[20:21]
	v_mov_b32_e32 v17, v12
	v_mad_co_u64_u32 v[12:13], null, s8, v32, 0
	v_mad_co_u64_u32 v[30:31], null, s9, v15, v[1:2]
	s_wait_alu 0xf1ff
	v_add_co_ci_u32_e64 v9, s1, v45, v9, s1
	v_add_nc_u32_e32 v31, 0x18c, v0
	v_add_co_u32 v28, s1, v44, v10
	s_wait_alu 0xf1ff
	v_add_co_ci_u32_e64 v29, s1, v45, v11, s1
	v_mov_b32_e32 v1, v13
	s_clause 0x3
	global_load_b64 v[20:21], v[4:5], off
	global_load_b64 v[14:15], v[6:7], off
	;; [unrolled: 1-line block ×4, first 2 shown]
	v_mad_co_u64_u32 v[8:9], null, s8, v31, 0
	v_lshlrev_b64_e32 v[6:7], 3, v[16:17]
	v_mad_co_u64_u32 v[16:17], null, s9, v32, v[1:2]
	v_dual_mov_b32 v25, v30 :: v_dual_add_nc_u32 v32, 0x1b0, v0
	s_delay_alu instid0(VALU_DEP_4) | instskip(NEXT) | instid1(VALU_DEP_4)
	v_mov_b32_e32 v1, v9
	v_add_co_u32 v6, s1, v44, v6
	s_delay_alu instid0(VALU_DEP_3) | instskip(SKIP_1) | instid1(VALU_DEP_4)
	v_mad_co_u64_u32 v[28:29], null, s8, v32, 0
	v_mov_b32_e32 v13, v16
	v_mad_co_u64_u32 v[16:17], null, s9, v31, v[1:2]
	v_mad_co_u64_u32 v[30:31], null, s8, v38, 0
	v_lshlrev_b64_e32 v[24:25], 3, v[24:25]
	v_mov_b32_e32 v1, v29
	v_lshlrev_b64_e32 v[12:13], 3, v[12:13]
	s_wait_alu 0xf1ff
	v_add_co_ci_u32_e64 v7, s1, v45, v7, s1
	v_mov_b32_e32 v9, v16
	v_mad_co_u64_u32 v[16:17], null, s9, v32, v[1:2]
	v_mad_co_u64_u32 v[32:33], null, s8, v41, 0
	v_mov_b32_e32 v1, v31
	v_add_co_u32 v24, s1, v44, v24
	v_lshlrev_b64_e32 v[8:9], 3, v[8:9]
	s_wait_alu 0xf1ff
	v_add_co_ci_u32_e64 v25, s1, v45, v25, s1
	v_mad_co_u64_u32 v[38:39], null, s9, v38, v[1:2]
	v_mov_b32_e32 v1, v33
	v_mad_co_u64_u32 v[39:40], null, s8, v46, 0
	v_add_co_u32 v12, s1, v44, v12
	s_delay_alu instid0(VALU_DEP_3)
	v_mad_co_u64_u32 v[41:42], null, s9, v41, v[1:2]
	v_mad_co_u64_u32 v[42:43], null, s8, v47, 0
	s_wait_alu 0xf1ff
	v_add_co_ci_u32_e64 v13, s1, v45, v13, s1
	v_mov_b32_e32 v29, v16
	v_mov_b32_e32 v1, v40
	v_add_co_u32 v36, s1, v44, v8
	s_wait_alu 0xf1ff
	v_add_co_ci_u32_e64 v37, s1, v45, v9, s1
	s_clause 0x3
	global_load_b64 v[6:7], v[6:7], off
	global_load_b64 v[8:9], v[24:25], off
	;; [unrolled: 1-line block ×4, first 2 shown]
	v_lshlrev_b64_e32 v[24:25], 3, v[28:29]
	v_mad_co_u64_u32 v[28:29], null, s9, v46, v[1:2]
	v_mov_b32_e32 v1, v43
	v_mov_b32_e32 v31, v38
	;; [unrolled: 1-line block ×3, first 2 shown]
	v_add_co_u32 v24, s1, v44, v24
	s_delay_alu instid0(VALU_DEP_4) | instskip(NEXT) | instid1(VALU_DEP_4)
	v_mad_co_u64_u32 v[36:37], null, s9, v47, v[1:2]
	v_lshlrev_b64_e32 v[29:30], 3, v[30:31]
	s_delay_alu instid0(VALU_DEP_4) | instskip(SKIP_3) | instid1(VALU_DEP_4)
	v_lshlrev_b64_e32 v[31:32], 3, v[32:33]
	v_mov_b32_e32 v40, v28
	s_wait_alu 0xf1ff
	v_add_co_ci_u32_e64 v25, s1, v45, v25, s1
	v_add_co_u32 v28, s1, v44, v29
	v_mov_b32_e32 v43, v36
	s_wait_alu 0xf1ff
	v_add_co_ci_u32_e64 v29, s1, v45, v30, s1
	v_lshlrev_b64_e32 v[37:38], 3, v[39:40]
	v_add_co_u32 v30, s1, v44, v31
	s_wait_alu 0xf1ff
	v_add_co_ci_u32_e64 v31, s1, v45, v32, s1
	v_lshlrev_b64_e32 v[32:33], 3, v[42:43]
	s_delay_alu instid0(VALU_DEP_4) | instskip(SKIP_2) | instid1(VALU_DEP_3)
	v_add_co_u32 v36, s1, v44, v37
	s_wait_alu 0xf1ff
	v_add_co_ci_u32_e64 v37, s1, v45, v38, s1
	v_add_co_u32 v38, s1, v44, v32
	s_wait_alu 0xf1ff
	v_add_co_ci_u32_e64 v39, s1, v45, v33, s1
	s_clause 0x4
	global_load_b64 v[24:25], v[24:25], off
	global_load_b64 v[32:33], v[28:29], off
	;; [unrolled: 1-line block ×5, first 2 shown]
.LBB0_11:
	s_wait_alu 0xfffe
	s_or_b32 exec_lo, exec_lo, s2
	s_and_saveexec_b32 s1, s0
	s_cbranch_execz .LBB0_13
; %bb.12:
	s_wait_loadcnt 0x0
	v_dual_sub_f32 v41, v35, v47 :: v_dual_add_f32 v36, v34, v46
	v_dual_add_f32 v29, v26, v48 :: v_dual_sub_f32 v42, v27, v49
	s_delay_alu instid0(VALU_DEP_2) | instskip(SKIP_1) | instid1(VALU_DEP_3)
	v_dual_add_f32 v1, v18, v44 :: v_dual_mul_f32 v52, 0xbe3c28d5, v41
	v_dual_sub_f32 v43, v19, v45 :: v_dual_add_f32 v28, v20, v32
	v_dual_mul_f32 v53, 0x3eb8f4ab, v42 :: v_dual_sub_f32 v40, v15, v25
	s_delay_alu instid0(VALU_DEP_3) | instskip(SKIP_1) | instid1(VALU_DEP_4)
	v_dual_fmamk_f32 v31, v36, 0xbf7ba420, v52 :: v_dual_sub_f32 v50, v11, v17
	v_dual_sub_f32 v39, v21, v33 :: v_dual_add_f32 v30, v14, v24
	v_mul_f32_e32 v54, 0xbf06c442, v43
	s_delay_alu instid0(VALU_DEP_3) | instskip(SKIP_1) | instid1(VALU_DEP_4)
	v_dual_fmamk_f32 v37, v29, 0x3f6eb680, v53 :: v_dual_add_f32 v38, v22, v31
	v_add_f32_e32 v31, v10, v16
	v_mul_f32_e32 v55, 0x3f2c7751, v39
	s_delay_alu instid0(VALU_DEP_4) | instskip(SKIP_2) | instid1(VALU_DEP_4)
	v_fmamk_f32 v56, v1, 0xbf59a7d5, v54
	v_fma_f32 v52, 0xbf7ba420, v36, -v52
	v_dual_add_f32 v38, v38, v37 :: v_dual_add_f32 v37, v4, v12
	v_dual_sub_f32 v51, v5, v13 :: v_dual_fmamk_f32 v58, v28, 0x3f3d2fb0, v55
	s_delay_alu instid0(VALU_DEP_2) | instskip(SKIP_3) | instid1(VALU_DEP_4)
	v_dual_mul_f32 v59, 0x3f65296c, v50 :: v_dual_add_f32 v56, v38, v56
	v_mul_f32_e32 v57, 0xbf4c4adb, v40
	v_add_f32_e32 v38, v6, v8
	v_fma_f32 v53, 0x3f6eb680, v29, -v53
	v_dual_fmamk_f32 v61, v31, 0x3ee437d1, v59 :: v_dual_add_f32 v56, v56, v58
	s_delay_alu instid0(VALU_DEP_4)
	v_fmamk_f32 v60, v30, 0xbf1a4643, v57
	v_add_f32_e32 v52, v22, v52
	v_fma_f32 v54, 0xbf59a7d5, v1, -v54
	v_mul_f32_e32 v65, 0x3f4c4adb, v39
	v_mul_f32_e32 v66, 0xbf06c442, v39
	v_add_f32_e32 v56, v56, v60
	v_mul_f32_e32 v60, 0xbf06c442, v41
	v_add_f32_e32 v52, v52, v53
	v_mul_f32_e32 v68, 0x3f2c7751, v43
	s_delay_alu instid0(VALU_DEP_4) | instskip(SKIP_4) | instid1(VALU_DEP_4)
	v_dual_mul_f32 v70, 0x3f763a35, v43 :: v_dual_add_f32 v53, v56, v61
	v_mul_f32_e32 v58, 0xbf763a35, v51
	v_dual_sub_f32 v56, v7, v9 :: v_dual_fmamk_f32 v63, v36, 0xbf59a7d5, v60
	v_add_f32_e32 v52, v52, v54
	v_fma_f32 v54, 0x3f3d2fb0, v28, -v55
	v_fmamk_f32 v62, v37, 0xbe8c1d8e, v58
	s_delay_alu instid0(VALU_DEP_4) | instskip(SKIP_2) | instid1(VALU_DEP_4)
	v_mul_f32_e32 v55, 0x3f7ee86f, v56
	v_mul_f32_e32 v61, 0x3f65296c, v42
	;; [unrolled: 1-line block ×3, first 2 shown]
	v_dual_add_f32 v52, v52, v54 :: v_dual_add_f32 v53, v62, v53
	v_fma_f32 v54, 0xbf1a4643, v30, -v57
	v_fmamk_f32 v57, v38, 0x3dbcf732, v55
	v_mul_f32_e32 v64, 0xbf7ee86f, v43
	v_fma_f32 v58, 0xbe8c1d8e, v37, -v58
	v_fma_f32 v55, 0x3dbcf732, v38, -v55
	s_delay_alu instid0(VALU_DEP_4)
	v_dual_add_f32 v52, v52, v54 :: v_dual_add_f32 v53, v53, v57
	v_dual_add_f32 v62, v22, v63 :: v_dual_fmamk_f32 v63, v29, 0x3ee437d1, v61
	v_fma_f32 v54, 0x3ee437d1, v31, -v59
	v_fmamk_f32 v59, v28, 0xbf1a4643, v65
	v_fma_f32 v61, 0x3ee437d1, v29, -v61
	v_mul_f32_e32 v71, 0x3eb8f4ab, v39
	v_dual_add_f32 v62, v62, v63 :: v_dual_fmamk_f32 v63, v1, 0x3dbcf732, v64
	v_mul_f32_e32 v73, 0xbf4c4adb, v43
	s_delay_alu instid0(VALU_DEP_2) | instskip(NEXT) | instid1(VALU_DEP_1)
	v_add_f32_e32 v57, v62, v63
	v_dual_add_f32 v57, v57, v59 :: v_dual_mul_f32 v62, 0xbeb8f4ab, v40
	v_add_f32_e32 v52, v52, v54
	v_fma_f32 v54, 0xbf59a7d5, v36, -v60
	v_mul_f32_e32 v60, 0xbe3c28d5, v50
	s_delay_alu instid0(VALU_DEP_4) | instskip(NEXT) | instid1(VALU_DEP_1)
	v_fmamk_f32 v59, v30, 0x3f6eb680, v62
	v_dual_add_f32 v54, v22, v54 :: v_dual_add_f32 v57, v57, v59
	v_dual_mul_f32 v59, 0x3f2c7751, v51 :: v_dual_add_f32 v52, v58, v52
	s_delay_alu instid0(VALU_DEP_4) | instskip(NEXT) | instid1(VALU_DEP_1)
	v_fmamk_f32 v58, v31, 0xbf7ba420, v60
	v_add_f32_e32 v57, v57, v58
	s_delay_alu instid0(VALU_DEP_3) | instskip(NEXT) | instid1(VALU_DEP_4)
	v_fmamk_f32 v58, v37, 0x3f3d2fb0, v59
	v_dual_mul_f32 v63, 0xbf4c4adb, v41 :: v_dual_add_f32 v52, v52, v55
	v_add_f32_e32 v54, v54, v61
	v_fma_f32 v61, 0x3dbcf732, v1, -v64
	s_delay_alu instid0(VALU_DEP_4) | instskip(NEXT) | instid1(VALU_DEP_4)
	v_add_f32_e32 v55, v58, v57
	v_fmamk_f32 v57, v36, 0xbf1a4643, v63
	v_mul_f32_e32 v58, 0x3f763a35, v42
	v_fma_f32 v59, 0x3f3d2fb0, v37, -v59
	v_add_f32_e32 v54, v54, v61
	v_fma_f32 v61, 0xbf1a4643, v28, -v65
	v_mul_f32_e32 v65, 0xbeb8f4ab, v43
	v_dual_add_f32 v57, v22, v57 :: v_dual_fmamk_f32 v64, v29, 0xbe8c1d8e, v58
	v_fma_f32 v60, 0xbf7ba420, v31, -v60
	s_delay_alu instid0(VALU_DEP_4) | instskip(SKIP_1) | instid1(VALU_DEP_4)
	v_add_f32_e32 v54, v54, v61
	v_fma_f32 v61, 0x3f6eb680, v30, -v62
	v_add_f32_e32 v57, v57, v64
	v_fmamk_f32 v64, v1, 0x3f6eb680, v65
	s_delay_alu instid0(VALU_DEP_1) | instskip(NEXT) | instid1(VALU_DEP_4)
	v_dual_add_f32 v57, v57, v64 :: v_dual_mul_f32 v64, 0xbe3c28d5, v51
	v_add_f32_e32 v54, v54, v61
	v_fma_f32 v58, 0xbe8c1d8e, v29, -v58
	s_delay_alu instid0(VALU_DEP_3) | instskip(SKIP_1) | instid1(VALU_DEP_4)
	v_fmamk_f32 v67, v37, 0xbf7ba420, v64
	v_mul_f32_e32 v62, 0xbf763a35, v56
	v_add_f32_e32 v54, v54, v60
	v_fmamk_f32 v60, v28, 0xbf59a7d5, v66
	s_delay_alu instid0(VALU_DEP_2) | instskip(SKIP_2) | instid1(VALU_DEP_4)
	v_dual_fmamk_f32 v61, v38, 0xbe8c1d8e, v62 :: v_dual_add_f32 v54, v59, v54
	v_fma_f32 v59, 0xbe8c1d8e, v38, -v62
	v_fma_f32 v62, 0xbf1a4643, v36, -v63
	v_add_f32_e32 v57, v57, v60
	s_delay_alu instid0(VALU_DEP_4) | instskip(SKIP_2) | instid1(VALU_DEP_2)
	v_add_f32_e32 v55, v55, v61
	v_mul_f32_e32 v61, 0x3f7ee86f, v40
	v_mul_f32_e32 v63, 0xbf2c7751, v50
	v_fmamk_f32 v60, v30, 0x3dbcf732, v61
	s_delay_alu instid0(VALU_DEP_1) | instskip(SKIP_2) | instid1(VALU_DEP_1)
	v_dual_add_f32 v57, v57, v60 :: v_dual_fmamk_f32 v60, v31, 0x3f3d2fb0, v63
	v_add_f32_e32 v54, v54, v59
	v_dual_add_f32 v59, v22, v62 :: v_dual_mul_f32 v62, 0xbf763a35, v41
	v_add_f32_e32 v58, v59, v58
	v_fma_f32 v59, 0x3f6eb680, v1, -v65
	s_delay_alu instid0(VALU_DEP_1) | instskip(SKIP_1) | instid1(VALU_DEP_2)
	v_dual_mul_f32 v65, 0x3f06c442, v42 :: v_dual_add_f32 v58, v58, v59
	v_fma_f32 v59, 0xbf59a7d5, v28, -v66
	v_fmamk_f32 v66, v29, 0xbf59a7d5, v65
	v_fma_f32 v65, 0xbf59a7d5, v29, -v65
	s_delay_alu instid0(VALU_DEP_3) | instskip(SKIP_3) | instid1(VALU_DEP_1)
	v_add_f32_e32 v58, v58, v59
	v_fma_f32 v59, 0x3dbcf732, v30, -v61
	v_fmamk_f32 v61, v1, 0x3f3d2fb0, v68
	v_dual_add_f32 v57, v57, v60 :: v_dual_fmamk_f32 v60, v36, 0xbe8c1d8e, v62
	v_dual_add_f32 v60, v22, v60 :: v_dual_add_f32 v57, v67, v57
	s_delay_alu instid0(VALU_DEP_1) | instskip(SKIP_1) | instid1(VALU_DEP_2)
	v_dual_mul_f32 v67, 0x3f65296c, v56 :: v_dual_add_f32 v60, v60, v66
	v_mul_f32_e32 v66, 0xbf65296c, v39
	v_fmamk_f32 v69, v38, 0x3ee437d1, v67
	v_fma_f32 v67, 0x3ee437d1, v38, -v67
	s_delay_alu instid0(VALU_DEP_4) | instskip(NEXT) | instid1(VALU_DEP_4)
	v_add_f32_e32 v60, v60, v61
	v_dual_fmamk_f32 v61, v28, 0x3ee437d1, v66 :: v_dual_add_f32 v58, v58, v59
	v_fma_f32 v59, 0x3f3d2fb0, v31, -v63
	v_mul_f32_e32 v63, 0xbe3c28d5, v40
	v_add_f32_e32 v57, v57, v69
	v_mul_f32_e32 v69, 0xbf7ee86f, v41
	v_add_f32_e32 v60, v60, v61
	v_add_f32_e32 v58, v58, v59
	v_fma_f32 v59, 0xbf7ba420, v37, -v64
	v_fmamk_f32 v61, v30, 0xbf7ba420, v63
	v_mul_f32_e32 v64, 0x3f7ee86f, v50
	v_fma_f32 v63, 0xbf7ba420, v30, -v63
	s_delay_alu instid0(VALU_DEP_3) | instskip(NEXT) | instid1(VALU_DEP_3)
	v_dual_add_f32 v58, v59, v58 :: v_dual_add_f32 v59, v60, v61
	v_fmamk_f32 v60, v31, 0x3dbcf732, v64
	v_mul_f32_e32 v61, 0xbeb8f4ab, v51
	s_delay_alu instid0(VALU_DEP_2) | instskip(SKIP_1) | instid1(VALU_DEP_3)
	v_add_f32_e32 v59, v59, v60
	v_fma_f32 v62, 0xbe8c1d8e, v36, -v62
	v_fmamk_f32 v60, v37, 0x3f6eb680, v61
	v_fma_f32 v61, 0x3f6eb680, v37, -v61
	s_delay_alu instid0(VALU_DEP_2) | instskip(SKIP_1) | instid1(VALU_DEP_2)
	v_dual_add_f32 v62, v22, v62 :: v_dual_add_f32 v59, v60, v59
	v_fmamk_f32 v60, v36, 0x3dbcf732, v69
	v_add_f32_e32 v62, v62, v65
	v_fma_f32 v65, 0x3f3d2fb0, v1, -v68
	s_delay_alu instid0(VALU_DEP_3) | instskip(NEXT) | instid1(VALU_DEP_2)
	v_add_f32_e32 v60, v22, v60
	v_add_f32_e32 v62, v62, v65
	v_fma_f32 v65, 0x3ee437d1, v28, -v66
	v_mul_f32_e32 v66, 0xbf4c4adb, v56
	s_delay_alu instid0(VALU_DEP_2) | instskip(NEXT) | instid1(VALU_DEP_2)
	v_add_f32_e32 v62, v62, v65
	v_fmamk_f32 v65, v38, 0xbf1a4643, v66
	v_dual_add_f32 v58, v58, v67 :: v_dual_mul_f32 v67, 0xbe3c28d5, v42
	v_fma_f32 v66, 0xbf1a4643, v38, -v66
	s_delay_alu instid0(VALU_DEP_4) | instskip(SKIP_3) | instid1(VALU_DEP_3)
	v_add_f32_e32 v62, v62, v63
	v_fma_f32 v63, 0x3dbcf732, v31, -v64
	v_fmamk_f32 v64, v28, 0x3f6eb680, v71
	v_dual_fmamk_f32 v68, v29, 0xbf7ba420, v67 :: v_dual_add_f32 v59, v59, v65
	v_dual_mul_f32 v65, 0xbf65296c, v40 :: v_dual_add_f32 v62, v62, v63
	v_fma_f32 v63, 0x3dbcf732, v36, -v69
	v_mul_f32_e32 v69, 0xbf65296c, v41
	s_delay_alu instid0(VALU_DEP_2) | instskip(SKIP_2) | instid1(VALU_DEP_3)
	v_dual_add_f32 v61, v61, v62 :: v_dual_add_f32 v62, v22, v63
	v_fma_f32 v63, 0xbf7ba420, v29, -v67
	v_mul_f32_e32 v67, 0x3f4c4adb, v51
	v_add_f32_e32 v61, v61, v66
	v_mul_f32_e32 v66, 0xbf4c4adb, v42
	s_delay_alu instid0(VALU_DEP_4) | instskip(SKIP_1) | instid1(VALU_DEP_1)
	v_add_f32_e32 v62, v62, v63
	v_fma_f32 v63, 0xbe8c1d8e, v1, -v70
	v_add_f32_e32 v62, v62, v63
	v_fma_f32 v63, 0x3f6eb680, v28, -v71
	v_dual_mul_f32 v71, 0x3e3c28d5, v43 :: v_dual_add_f32 v60, v60, v68
	v_fmamk_f32 v68, v1, 0xbe8c1d8e, v70
	v_mul_f32_e32 v70, 0x3f2c7751, v56
	s_delay_alu instid0(VALU_DEP_4) | instskip(SKIP_1) | instid1(VALU_DEP_4)
	v_add_f32_e32 v62, v62, v63
	v_fma_f32 v63, 0x3ee437d1, v30, -v65
	v_dual_mul_f32 v43, 0xbf65296c, v43 :: v_dual_add_f32 v60, v60, v68
	v_mul_f32_e32 v68, 0xbf06c442, v50
	v_fmamk_f32 v72, v38, 0x3f3d2fb0, v70
	s_delay_alu instid0(VALU_DEP_4)
	v_add_f32_e32 v62, v62, v63
	v_fma_f32 v70, 0x3f3d2fb0, v38, -v70
	v_add_f32_e32 v60, v60, v64
	v_fmamk_f32 v64, v30, 0x3ee437d1, v65
	v_fma_f32 v63, 0xbf59a7d5, v31, -v68
	v_fmamk_f32 v65, v29, 0xbf1a4643, v66
	v_fma_f32 v66, 0xbf1a4643, v29, -v66
	s_delay_alu instid0(VALU_DEP_4) | instskip(SKIP_4) | instid1(VALU_DEP_4)
	v_add_f32_e32 v60, v60, v64
	v_fmamk_f32 v64, v31, 0xbf59a7d5, v68
	v_add_f32_e32 v62, v62, v63
	v_fma_f32 v63, 0x3ee437d1, v36, -v69
	v_mul_f32_e32 v68, 0x3f763a35, v39
	v_add_f32_e32 v60, v60, v64
	s_delay_alu instid0(VALU_DEP_3) | instskip(SKIP_1) | instid1(VALU_DEP_2)
	v_dual_fmamk_f32 v64, v37, 0xbf1a4643, v67 :: v_dual_add_f32 v63, v22, v63
	v_fma_f32 v67, 0xbf1a4643, v37, -v67
	v_add_f32_e32 v60, v64, v60
	s_delay_alu instid0(VALU_DEP_3) | instskip(SKIP_2) | instid1(VALU_DEP_4)
	v_dual_fmamk_f32 v64, v36, 0x3ee437d1, v69 :: v_dual_add_f32 v63, v63, v66
	v_fma_f32 v66, 0xbf7ba420, v1, -v71
	v_mul_f32_e32 v69, 0x3f2c7751, v40
	v_add_f32_e32 v60, v60, v72
	s_delay_alu instid0(VALU_DEP_4)
	v_add_f32_e32 v64, v22, v64
	v_add_f32_e32 v62, v67, v62
	v_add_f32_e32 v63, v63, v66
	v_fma_f32 v66, 0xbe8c1d8e, v28, -v68
	v_mul_f32_e32 v72, 0xbeb8f4ab, v50
	v_dual_add_f32 v64, v64, v65 :: v_dual_fmamk_f32 v65, v1, 0xbf7ba420, v71
	v_add_f32_e32 v62, v62, v70
	s_delay_alu instid0(VALU_DEP_4)
	v_add_f32_e32 v63, v63, v66
	v_fma_f32 v66, 0x3f3d2fb0, v30, -v69
	v_mul_f32_e32 v70, 0xbf7ee86f, v42
	v_add_f32_e32 v64, v64, v65
	v_fmamk_f32 v65, v28, 0xbe8c1d8e, v68
	v_mul_f32_e32 v68, 0xbf2c7751, v41
	v_mul_f32_e32 v67, 0xbf7ee86f, v51
	v_add_f32_e32 v63, v63, v66
	v_fma_f32 v66, 0x3f6eb680, v31, -v72
	v_dual_add_f32 v64, v64, v65 :: v_dual_fmamk_f32 v65, v30, 0x3f3d2fb0, v69
	v_fmamk_f32 v69, v36, 0x3f3d2fb0, v68
	v_mul_f32_e32 v41, 0xbeb8f4ab, v41
	s_delay_alu instid0(VALU_DEP_4) | instskip(SKIP_3) | instid1(VALU_DEP_3)
	v_add_f32_e32 v63, v63, v66
	v_fma_f32 v66, 0x3dbcf732, v37, -v67
	v_dual_add_f32 v64, v64, v65 :: v_dual_fmamk_f32 v65, v31, 0x3f6eb680, v72
	v_dual_add_f32 v69, v22, v69 :: v_dual_fmamk_f32 v72, v29, 0x3dbcf732, v70
	v_dual_add_f32 v63, v66, v63 :: v_dual_mul_f32 v42, 0xbf2c7751, v42
	s_delay_alu instid0(VALU_DEP_3) | instskip(SKIP_1) | instid1(VALU_DEP_4)
	v_dual_add_f32 v64, v64, v65 :: v_dual_fmamk_f32 v65, v37, 0x3dbcf732, v67
	v_fma_f32 v67, 0x3f3d2fb0, v36, -v68
	v_add_f32_e32 v68, v69, v72
	v_fmamk_f32 v69, v1, 0xbf1a4643, v73
	v_mul_f32_e32 v72, 0xbe3c28d5, v39
	v_add_f32_e32 v64, v65, v64
	v_add_f32_e32 v66, v22, v67
	v_fma_f32 v67, 0x3dbcf732, v29, -v70
	v_add_f32_e32 v68, v68, v69
	v_fmamk_f32 v69, v28, 0xbf7ba420, v72
	v_mul_f32_e32 v65, 0xbf06c442, v56
	v_mul_f32_e32 v70, 0x3f06c442, v40
	v_add_f32_e32 v66, v66, v67
	v_fma_f32 v67, 0xbf1a4643, v1, -v73
	v_dual_add_f32 v68, v68, v69 :: v_dual_add_f32 v69, v22, v34
	v_fmamk_f32 v71, v38, 0xbf59a7d5, v65
	v_fma_f32 v65, 0xbf59a7d5, v38, -v65
	s_delay_alu instid0(VALU_DEP_4)
	v_add_f32_e32 v66, v66, v67
	v_fma_f32 v67, 0xbf7ba420, v28, -v72
	v_add_f32_e32 v69, v69, v26
	v_fmamk_f32 v73, v30, 0xbf59a7d5, v70
	v_add_f32_e32 v63, v63, v65
	v_fmamk_f32 v72, v31, 0xbe8c1d8e, v74
	s_delay_alu instid0(VALU_DEP_4) | instskip(SKIP_3) | instid1(VALU_DEP_3)
	v_dual_add_f32 v66, v66, v67 :: v_dual_add_f32 v67, v69, v18
	v_fma_f32 v69, 0xbf59a7d5, v30, -v70
	v_dual_add_f32 v68, v68, v73 :: v_dual_mul_f32 v73, 0x3f65296c, v51
	v_mul_f32_e32 v39, 0xbf7ee86f, v39
	v_dual_add_f32 v65, v67, v20 :: v_dual_add_f32 v66, v66, v69
	v_fma_f32 v67, 0xbe8c1d8e, v31, -v74
	s_delay_alu instid0(VALU_DEP_4) | instskip(SKIP_1) | instid1(VALU_DEP_4)
	v_add_f32_e32 v68, v68, v72
	v_fma_f32 v72, 0x3f6eb680, v36, -v41
	v_dual_add_f32 v65, v65, v14 :: v_dual_fmamk_f32 v36, v36, 0x3f6eb680, v41
	s_delay_alu instid0(VALU_DEP_4) | instskip(SKIP_1) | instid1(VALU_DEP_3)
	v_add_f32_e32 v66, v66, v67
	v_fma_f32 v67, 0x3ee437d1, v37, -v73
	v_dual_mul_f32 v40, 0xbf763a35, v40 :: v_dual_add_f32 v65, v65, v10
	v_mul_f32_e32 v69, 0x3eb8f4ab, v56
	v_fmamk_f32 v70, v37, 0x3ee437d1, v73
	s_delay_alu instid0(VALU_DEP_4)
	v_add_f32_e32 v66, v67, v66
	v_fma_f32 v67, 0x3f3d2fb0, v29, -v42
	v_add_f32_e32 v41, v65, v4
	v_add_f32_e32 v65, v22, v72
	v_dual_add_f32 v22, v22, v36 :: v_dual_fmamk_f32 v29, v29, 0x3f3d2fb0, v42
	v_fma_f32 v42, 0x3ee437d1, v1, -v43
	s_delay_alu instid0(VALU_DEP_4) | instskip(NEXT) | instid1(VALU_DEP_4)
	v_add_f32_e32 v36, v41, v6
	v_add_f32_e32 v41, v65, v67
	s_delay_alu instid0(VALU_DEP_4) | instskip(SKIP_1) | instid1(VALU_DEP_3)
	v_dual_fmamk_f32 v1, v1, 0x3ee437d1, v43 :: v_dual_add_f32 v22, v22, v29
	v_add_f32_e32 v68, v70, v68
	v_dual_add_f32 v36, v36, v8 :: v_dual_add_f32 v29, v41, v42
	v_fma_f32 v41, 0x3dbcf732, v28, -v39
	s_delay_alu instid0(VALU_DEP_4) | instskip(NEXT) | instid1(VALU_DEP_3)
	v_dual_add_f32 v1, v22, v1 :: v_dual_fmamk_f32 v22, v28, 0x3dbcf732, v39
	v_dual_add_f32 v36, v12, v36 :: v_dual_mul_f32 v39, 0xbf4c4adb, v50
	s_delay_alu instid0(VALU_DEP_3) | instskip(NEXT) | instid1(VALU_DEP_3)
	v_add_f32_e32 v28, v29, v41
	v_dual_fmamk_f32 v70, v38, 0x3f6eb680, v69 :: v_dual_add_f32 v1, v1, v22
	s_delay_alu instid0(VALU_DEP_3) | instskip(SKIP_3) | instid1(VALU_DEP_4)
	v_add_f32_e32 v29, v16, v36
	v_fma_f32 v36, 0xbe8c1d8e, v30, -v40
	v_fmamk_f32 v22, v30, 0xbe8c1d8e, v40
	v_fma_f32 v30, 0xbf1a4643, v31, -v39
	v_add_f32_e32 v29, v24, v29
	s_delay_alu instid0(VALU_DEP_4) | instskip(NEXT) | instid1(VALU_DEP_4)
	v_add_f32_e32 v28, v28, v36
	v_dual_mul_f32 v36, 0xbf06c442, v51 :: v_dual_add_f32 v1, v1, v22
	s_delay_alu instid0(VALU_DEP_3) | instskip(NEXT) | instid1(VALU_DEP_3)
	v_dual_add_f32 v22, v32, v29 :: v_dual_fmamk_f32 v29, v31, 0xbf1a4643, v39
	v_add_f32_e32 v28, v28, v30
	s_delay_alu instid0(VALU_DEP_3) | instskip(NEXT) | instid1(VALU_DEP_3)
	v_fma_f32 v30, 0xbf59a7d5, v37, -v36
	v_dual_mul_f32 v31, 0xbe3c28d5, v56 :: v_dual_add_f32 v22, v44, v22
	s_delay_alu instid0(VALU_DEP_4) | instskip(NEXT) | instid1(VALU_DEP_3)
	v_add_f32_e32 v1, v1, v29
	v_dual_fmamk_f32 v29, v37, 0xbf59a7d5, v36 :: v_dual_add_f32 v28, v30, v28
	s_delay_alu instid0(VALU_DEP_3) | instskip(NEXT) | instid1(VALU_DEP_4)
	v_fma_f32 v30, 0xbf7ba420, v38, -v31
	v_add_f32_e32 v22, v48, v22
	v_fma_f32 v36, 0x3f6eb680, v38, -v69
	s_delay_alu instid0(VALU_DEP_4) | instskip(NEXT) | instid1(VALU_DEP_4)
	v_add_f32_e32 v1, v29, v1
	v_dual_fmamk_f32 v29, v38, 0xbf7ba420, v31 :: v_dual_add_f32 v28, v28, v30
	s_delay_alu instid0(VALU_DEP_4)
	v_add_f32_e32 v22, v46, v22
	v_mad_u32_u24 v30, 0x44, v0, 0
	v_dual_add_f32 v31, v66, v36 :: v_dual_add_f32 v36, v64, v71
	v_add_f32_e32 v37, v68, v70
	v_add_f32_e32 v1, v1, v29
	ds_store_2addr_b32 v30, v22, v28 offset1:1
	ds_store_2addr_b32 v30, v31, v63 offset0:2 offset1:3
	ds_store_2addr_b32 v30, v62, v61 offset0:4 offset1:5
	ds_store_2addr_b32 v30, v58, v54 offset0:6 offset1:7
	ds_store_2addr_b32 v30, v52, v53 offset0:8 offset1:9
	ds_store_2addr_b32 v30, v55, v57 offset0:10 offset1:11
	ds_store_2addr_b32 v30, v59, v60 offset0:12 offset1:13
	ds_store_2addr_b32 v30, v36, v37 offset0:14 offset1:15
	ds_store_b32 v30, v1 offset:64
.LBB0_13:
	s_wait_alu 0xfffe
	s_or_b32 exec_lo, exec_lo, s1
	s_wait_loadcnt 0x10
	v_lshl_add_u32 v22, v0, 2, 0
	global_wb scope:SCOPE_SE
	s_wait_loadcnt_dscnt 0x0
	s_barrier_signal -1
	s_barrier_wait -1
	global_inv scope:SCOPE_SE
	v_add_nc_u32_e32 v1, 0x400, v22
	v_add_nc_u32_e32 v50, 0x600, v22
	ds_load_2addr_b32 v[28:29], v22 offset1:51
	ds_load_2addr_b32 v[40:41], v22 offset0:204 offset1:255
	ds_load_2addr_b32 v[30:31], v22 offset0:102 offset1:153
	;; [unrolled: 1-line block ×5, first 2 shown]
	global_wb scope:SCOPE_SE
	s_wait_dscnt 0x0
	s_barrier_signal -1
	s_barrier_wait -1
	global_inv scope:SCOPE_SE
	s_and_saveexec_b32 s1, s0
	s_cbranch_execz .LBB0_15
; %bb.14:
	v_dual_add_f32 v51, v23, v35 :: v_dual_sub_f32 v34, v34, v46
	v_add_f32_e32 v46, v27, v49
	v_dual_add_f32 v35, v35, v47 :: v_dual_sub_f32 v26, v26, v48
	s_delay_alu instid0(VALU_DEP_3) | instskip(SKIP_2) | instid1(VALU_DEP_3)
	v_dual_add_f32 v27, v51, v27 :: v_dual_mul_f32 v48, 0xbeb8f4ab, v34
	v_mul_f32_e32 v51, 0xbf2c7751, v34
	v_mul_f32_e32 v52, 0xbf65296c, v34
	v_dual_sub_f32 v10, v10, v16 :: v_dual_add_f32 v27, v27, v19
	v_mul_f32_e32 v54, 0xbf763a35, v34
	s_delay_alu instid0(VALU_DEP_4) | instskip(SKIP_1) | instid1(VALU_DEP_4)
	v_fmamk_f32 v62, v35, 0x3f3d2fb0, v51
	v_fma_f32 v51, 0x3f3d2fb0, v35, -v51
	v_dual_sub_f32 v18, v18, v44 :: v_dual_add_f32 v27, v27, v21
	v_mul_f32_e32 v56, 0xbf06c442, v34
	s_delay_alu instid0(VALU_DEP_4)
	v_add_f32_e32 v62, v23, v62
	v_fmamk_f32 v61, v35, 0x3f6eb680, v48
	v_fma_f32 v48, 0x3f6eb680, v35, -v48
	v_add_f32_e32 v27, v27, v15
	v_mul_f32_e32 v53, 0xbf7ee86f, v34
	v_add_f32_e32 v19, v19, v45
	v_add_f32_e32 v61, v23, v61
	v_fmamk_f32 v63, v35, 0x3ee437d1, v52
	v_add_f32_e32 v27, v27, v11
	v_fma_f32 v52, 0x3ee437d1, v35, -v52
	v_mul_f32_e32 v55, 0xbf4c4adb, v34
	v_mul_f32_e32 v34, 0xbe3c28d5, v34
	s_delay_alu instid0(VALU_DEP_4) | instskip(SKIP_3) | instid1(VALU_DEP_4)
	v_dual_mul_f32 v58, 0xbf7ee86f, v26 :: v_dual_add_f32 v27, v27, v5
	v_mul_f32_e32 v60, 0xbe3c28d5, v26
	v_add_f32_e32 v52, v23, v52
	v_add_f32_e32 v48, v23, v48
	v_dual_fmamk_f32 v64, v35, 0x3dbcf732, v53 :: v_dual_fmamk_f32 v69, v46, 0x3dbcf732, v58
	v_add_f32_e32 v27, v27, v7
	v_mul_f32_e32 v57, 0xbf2c7751, v26
	v_fma_f32 v53, 0x3dbcf732, v35, -v53
	s_delay_alu instid0(VALU_DEP_4) | instskip(SKIP_2) | instid1(VALU_DEP_4)
	v_add_f32_e32 v64, v23, v64
	v_fma_f32 v58, 0x3dbcf732, v46, -v58
	v_dual_add_f32 v27, v27, v9 :: v_dual_sub_f32 v20, v20, v32
	v_add_f32_e32 v53, v23, v53
	v_dual_add_f32 v21, v21, v33 :: v_dual_sub_f32 v14, v14, v24
	s_delay_alu instid0(VALU_DEP_3) | instskip(SKIP_2) | instid1(VALU_DEP_3)
	v_dual_add_f32 v27, v13, v27 :: v_dual_fmamk_f32 v66, v35, 0xbf1a4643, v55
	v_fma_f32 v55, 0xbf1a4643, v35, -v55
	v_sub_f32_e32 v4, v4, v12
	v_dual_sub_f32 v6, v6, v8 :: v_dual_add_f32 v27, v17, v27
	v_fmamk_f32 v68, v35, 0xbf7ba420, v34
	v_fma_f32 v34, 0xbf7ba420, v35, -v34
	v_dual_fmamk_f32 v71, v46, 0xbf7ba420, v60 :: v_dual_add_f32 v66, v23, v66
	s_delay_alu instid0(VALU_DEP_3) | instskip(SKIP_2) | instid1(VALU_DEP_3)
	v_dual_add_f32 v27, v25, v27 :: v_dual_add_f32 v68, v23, v68
	v_add_f32_e32 v63, v23, v63
	v_add_f32_e32 v55, v23, v55
	;; [unrolled: 1-line block ×3, first 2 shown]
	v_mul_f32_e32 v33, 0xbf7ee86f, v20
	s_delay_alu instid0(VALU_DEP_2) | instskip(NEXT) | instid1(VALU_DEP_1)
	v_add_f32_e32 v27, v45, v27
	v_add_f32_e32 v27, v49, v27
	s_delay_alu instid0(VALU_DEP_1) | instskip(SKIP_3) | instid1(VALU_DEP_1)
	v_add_f32_e32 v27, v47, v27
	v_mul_f32_e32 v47, 0x3f06c442, v26
	v_fmamk_f32 v67, v35, 0xbf59a7d5, v56
	v_fma_f32 v56, 0xbf59a7d5, v35, -v56
	v_dual_mul_f32 v59, 0xbf4c4adb, v26 :: v_dual_add_f32 v56, v23, v56
	s_delay_alu instid0(VALU_DEP_1)
	v_fmamk_f32 v70, v46, 0xbf1a4643, v59
	v_fma_f32 v59, 0xbf1a4643, v46, -v59
	v_fmamk_f32 v65, v35, 0xbe8c1d8e, v54
	v_fma_f32 v54, 0xbe8c1d8e, v35, -v54
	;; [unrolled: 2-line block ×3, first 2 shown]
	s_delay_alu instid0(VALU_DEP_4) | instskip(SKIP_4) | instid1(VALU_DEP_4)
	v_dual_add_f32 v52, v52, v59 :: v_dual_add_f32 v65, v23, v65
	v_add_f32_e32 v51, v23, v51
	v_add_f32_e32 v54, v23, v54
	;; [unrolled: 1-line block ×5, first 2 shown]
	v_mul_f32_e32 v58, 0x3f763a35, v26
	v_dual_add_f32 v34, v61, v35 :: v_dual_add_f32 v35, v48, v57
	v_fma_f32 v57, 0xbf7ba420, v46, -v60
	v_fmamk_f32 v60, v46, 0xbf59a7d5, v47
	v_fma_f32 v47, 0xbf59a7d5, v46, -v47
	v_mul_f32_e32 v61, 0x3f65296c, v26
	s_delay_alu instid0(VALU_DEP_4)
	v_dual_mul_f32 v26, 0x3eb8f4ab, v26 :: v_dual_add_f32 v53, v53, v57
	v_fmamk_f32 v57, v46, 0xbe8c1d8e, v58
	v_fma_f32 v58, 0xbe8c1d8e, v46, -v58
	v_add_f32_e32 v47, v54, v47
	v_fma_f32 v44, 0x3ee437d1, v46, -v61
	v_add_f32_e32 v48, v62, v69
	v_dual_add_f32 v54, v66, v57 :: v_dual_add_f32 v51, v63, v70
	v_dual_add_f32 v55, v55, v58 :: v_dual_fmamk_f32 v58, v46, 0x3f6eb680, v26
	v_fmamk_f32 v57, v46, 0x3ee437d1, v61
	v_fma_f32 v26, 0x3f6eb680, v46, -v26
	v_add_f32_e32 v44, v56, v44
	v_mul_f32_e32 v56, 0xbf4c4adb, v18
	v_add_f32_e32 v46, v68, v58
	v_mul_f32_e32 v45, 0xbf65296c, v18
	v_dual_add_f32 v59, v64, v71 :: v_dual_add_f32 v60, v65, v60
	s_delay_alu instid0(VALU_DEP_2) | instskip(NEXT) | instid1(VALU_DEP_1)
	v_fmamk_f32 v58, v19, 0x3ee437d1, v45
	v_add_f32_e32 v34, v34, v58
	v_mul_f32_e32 v58, 0x3f763a35, v18
	v_fmamk_f32 v61, v19, 0xbf1a4643, v56
	v_fma_f32 v45, 0x3ee437d1, v19, -v45
	s_delay_alu instid0(VALU_DEP_2) | instskip(NEXT) | instid1(VALU_DEP_2)
	v_dual_add_f32 v48, v48, v61 :: v_dual_add_f32 v23, v23, v26
	v_dual_mul_f32 v26, 0x3e3c28d5, v18 :: v_dual_add_f32 v35, v35, v45
	v_fma_f32 v45, 0xbf1a4643, v19, -v56
	s_delay_alu instid0(VALU_DEP_2) | instskip(SKIP_1) | instid1(VALU_DEP_1)
	v_fmamk_f32 v56, v19, 0xbf7ba420, v26
	v_fma_f32 v26, 0xbf7ba420, v19, -v26
	v_add_f32_e32 v26, v52, v26
	v_fma_f32 v52, 0xbe8c1d8e, v19, -v58
	s_delay_alu instid0(VALU_DEP_1)
	v_add_f32_e32 v52, v53, v52
	v_add_f32_e32 v45, v49, v45
	;; [unrolled: 1-line block ×3, first 2 shown]
	v_mul_f32_e32 v51, 0x3f2c7751, v18
	v_fmamk_f32 v56, v19, 0xbe8c1d8e, v58
	v_mul_f32_e32 v58, 0xbeb8f4ab, v18
	s_delay_alu instid0(VALU_DEP_2) | instskip(NEXT) | instid1(VALU_DEP_4)
	v_add_f32_e32 v56, v59, v56
	v_fmamk_f32 v61, v19, 0x3f3d2fb0, v51
	v_fma_f32 v51, 0x3f3d2fb0, v19, -v51
	s_delay_alu instid0(VALU_DEP_4) | instskip(SKIP_1) | instid1(VALU_DEP_3)
	v_fmamk_f32 v53, v19, 0x3f6eb680, v58
	v_fma_f32 v58, 0x3f6eb680, v19, -v58
	v_add_f32_e32 v47, v47, v51
	v_mul_f32_e32 v51, 0xbf7ee86f, v18
	s_delay_alu instid0(VALU_DEP_4) | instskip(NEXT) | instid1(VALU_DEP_4)
	v_dual_add_f32 v53, v54, v53 :: v_dual_mul_f32 v18, 0xbf06c442, v18
	v_add_f32_e32 v54, v55, v58
	v_add_f32_e32 v57, v67, v57
	s_delay_alu instid0(VALU_DEP_4) | instskip(SKIP_1) | instid1(VALU_DEP_2)
	v_fmamk_f32 v32, v19, 0x3dbcf732, v51
	v_fma_f32 v51, 0x3dbcf732, v19, -v51
	v_dual_add_f32 v32, v57, v32 :: v_dual_fmamk_f32 v55, v19, 0xbf59a7d5, v18
	v_fma_f32 v18, 0xbf59a7d5, v19, -v18
	s_delay_alu instid0(VALU_DEP_3) | instskip(NEXT) | instid1(VALU_DEP_3)
	v_add_f32_e32 v19, v44, v51
	v_dual_mul_f32 v51, 0xbe3c28d5, v20 :: v_dual_add_f32 v44, v46, v55
	v_fmamk_f32 v46, v21, 0x3dbcf732, v33
	s_delay_alu instid0(VALU_DEP_1) | instskip(NEXT) | instid1(VALU_DEP_3)
	v_dual_mul_f32 v55, 0x3eb8f4ab, v20 :: v_dual_add_f32 v34, v34, v46
	v_fmamk_f32 v46, v21, 0xbf7ba420, v51
	v_add_f32_e32 v18, v23, v18
	s_delay_alu instid0(VALU_DEP_2) | instskip(NEXT) | instid1(VALU_DEP_4)
	v_add_f32_e32 v46, v48, v46
	v_fmamk_f32 v48, v21, 0x3f6eb680, v55
	s_delay_alu instid0(VALU_DEP_1) | instskip(SKIP_4) | instid1(VALU_DEP_4)
	v_add_f32_e32 v48, v56, v48
	v_dual_add_f32 v59, v60, v61 :: v_dual_mul_f32 v56, 0x3f4c4adb, v20
	v_fma_f32 v23, 0x3dbcf732, v21, -v33
	v_mul_f32_e32 v33, 0x3f763a35, v20
	v_fma_f32 v51, 0xbf7ba420, v21, -v51
	v_fma_f32 v24, 0xbf1a4643, v21, -v56
	s_delay_alu instid0(VALU_DEP_4) | instskip(NEXT) | instid1(VALU_DEP_4)
	v_add_f32_e32 v23, v35, v23
	v_fmamk_f32 v35, v21, 0xbe8c1d8e, v33
	v_fma_f32 v33, 0xbe8c1d8e, v21, -v33
	v_add_f32_e32 v45, v45, v51
	v_fma_f32 v51, 0x3f6eb680, v21, -v55
	s_delay_alu instid0(VALU_DEP_3)
	v_dual_add_f32 v26, v26, v33 :: v_dual_mul_f32 v33, 0xbf06c442, v20
	v_add_f32_e32 v15, v15, v25
	v_mul_f32_e32 v25, 0xbf763a35, v14
	v_add_f32_e32 v35, v49, v35
	v_mul_f32_e32 v49, 0xbf65296c, v20
	v_dual_mul_f32 v20, 0x3f2c7751, v20 :: v_dual_add_f32 v51, v52, v51
	v_fmamk_f32 v52, v21, 0xbf59a7d5, v33
	v_fma_f32 v33, 0xbf59a7d5, v21, -v33
	s_delay_alu instid0(VALU_DEP_4) | instskip(SKIP_1) | instid1(VALU_DEP_1)
	v_fmamk_f32 v55, v21, 0x3ee437d1, v49
	v_fma_f32 v49, 0x3ee437d1, v21, -v49
	v_add_f32_e32 v47, v47, v49
	v_add_f32_e32 v49, v53, v52
	v_dual_fmamk_f32 v52, v21, 0xbf1a4643, v56 :: v_dual_add_f32 v19, v19, v24
	v_mul_f32_e32 v24, 0x3f06c442, v14
	s_delay_alu instid0(VALU_DEP_2) | instskip(SKIP_2) | instid1(VALU_DEP_2)
	v_add_f32_e32 v32, v32, v52
	v_fmamk_f32 v52, v21, 0x3f3d2fb0, v20
	v_fma_f32 v20, 0x3f3d2fb0, v21, -v20
	v_dual_add_f32 v21, v44, v52 :: v_dual_fmamk_f32 v44, v15, 0xbe8c1d8e, v25
	v_fma_f32 v25, 0xbe8c1d8e, v15, -v25
	s_delay_alu instid0(VALU_DEP_3) | instskip(SKIP_1) | instid1(VALU_DEP_4)
	v_add_f32_e32 v18, v18, v20
	v_mul_f32_e32 v20, 0x3f2c7751, v14
	v_dual_add_f32 v34, v34, v44 :: v_dual_add_f32 v55, v59, v55
	s_delay_alu instid0(VALU_DEP_4) | instskip(NEXT) | instid1(VALU_DEP_3)
	v_add_f32_e32 v23, v23, v25
	v_fmamk_f32 v25, v15, 0x3f3d2fb0, v20
	v_fma_f32 v20, 0x3f3d2fb0, v15, -v20
	s_delay_alu instid0(VALU_DEP_1) | instskip(SKIP_4) | instid1(VALU_DEP_4)
	v_dual_add_f32 v25, v35, v25 :: v_dual_add_f32 v20, v26, v20
	v_fmamk_f32 v52, v15, 0xbf59a7d5, v24
	v_fma_f32 v24, 0xbf59a7d5, v15, -v24
	v_mul_f32_e32 v35, 0xbe3c28d5, v14
	v_add_f32_e32 v33, v54, v33
	v_add_f32_e32 v44, v46, v52
	s_delay_alu instid0(VALU_DEP_4) | instskip(SKIP_3) | instid1(VALU_DEP_3)
	v_add_f32_e32 v24, v45, v24
	v_mul_f32_e32 v46, 0xbf65296c, v14
	v_fmamk_f32 v52, v15, 0xbf7ba420, v35
	v_fma_f32 v35, 0xbf7ba420, v15, -v35
	v_fmamk_f32 v45, v15, 0x3ee437d1, v46
	v_fma_f32 v26, 0x3ee437d1, v15, -v46
	s_delay_alu instid0(VALU_DEP_3) | instskip(NEXT) | instid1(VALU_DEP_2)
	v_dual_mul_f32 v46, 0x3f7ee86f, v14 :: v_dual_add_f32 v35, v47, v35
	v_dual_add_f32 v45, v48, v45 :: v_dual_add_f32 v26, v51, v26
	s_delay_alu instid0(VALU_DEP_2) | instskip(SKIP_3) | instid1(VALU_DEP_4)
	v_fmamk_f32 v48, v15, 0x3dbcf732, v46
	v_fma_f32 v46, 0x3dbcf732, v15, -v46
	v_mul_f32_e32 v47, 0xbeb8f4ab, v14
	v_mul_f32_e32 v14, 0xbf4c4adb, v14
	v_add_f32_e32 v48, v49, v48
	s_delay_alu instid0(VALU_DEP_3) | instskip(SKIP_1) | instid1(VALU_DEP_4)
	v_dual_add_f32 v33, v33, v46 :: v_dual_fmamk_f32 v16, v15, 0x3f6eb680, v47
	v_fma_f32 v46, 0x3f6eb680, v15, -v47
	v_fmamk_f32 v47, v15, 0xbf1a4643, v14
	v_add_f32_e32 v11, v11, v17
	v_mul_f32_e32 v17, 0xbf4c4adb, v10
	v_fma_f32 v14, 0xbf1a4643, v15, -v14
	v_add_f32_e32 v16, v32, v16
	v_dual_mul_f32 v32, 0x3f763a35, v10 :: v_dual_add_f32 v15, v21, v47
	s_delay_alu instid0(VALU_DEP_4)
	v_fmamk_f32 v21, v11, 0xbf1a4643, v17
	v_fma_f32 v17, 0xbf1a4643, v11, -v17
	v_add_f32_e32 v14, v18, v14
	v_mul_f32_e32 v18, 0xbeb8f4ab, v10
	v_add_f32_e32 v19, v19, v46
	v_dual_add_f32 v21, v34, v21 :: v_dual_fmamk_f32 v34, v11, 0xbe8c1d8e, v32
	v_add_f32_e32 v17, v23, v17
	v_fma_f32 v23, 0xbe8c1d8e, v11, -v32
	v_fmamk_f32 v32, v11, 0x3f6eb680, v18
	v_mul_f32_e32 v46, 0xbf06c442, v10
	v_fma_f32 v18, 0x3f6eb680, v11, -v18
	v_add_f32_e32 v34, v44, v34
	v_dual_mul_f32 v44, 0xbf2c7751, v10 :: v_dual_add_f32 v23, v24, v23
	s_delay_alu instid0(VALU_DEP_3) | instskip(SKIP_4) | instid1(VALU_DEP_4)
	v_dual_add_f32 v51, v55, v52 :: v_dual_add_f32 v18, v20, v18
	v_fma_f32 v20, 0xbf59a7d5, v11, -v46
	v_add_f32_e32 v24, v25, v32
	v_dual_mul_f32 v32, 0x3f7ee86f, v10 :: v_dual_add_f32 v5, v5, v13
	v_mul_f32_e32 v13, 0xbf06c442, v4
	v_add_f32_e32 v20, v26, v20
	v_fmamk_f32 v26, v11, 0x3f3d2fb0, v44
	s_delay_alu instid0(VALU_DEP_1) | instskip(SKIP_1) | instid1(VALU_DEP_2)
	v_dual_add_f32 v26, v48, v26 :: v_dual_fmamk_f32 v25, v11, 0xbf59a7d5, v46
	v_fma_f32 v44, 0x3f3d2fb0, v11, -v44
	v_add_f32_e32 v25, v45, v25
	v_fmamk_f32 v45, v11, 0x3dbcf732, v32
	v_fma_f32 v32, 0x3dbcf732, v11, -v32
	s_delay_alu instid0(VALU_DEP_1) | instskip(SKIP_1) | instid1(VALU_DEP_2)
	v_dual_add_f32 v32, v35, v32 :: v_dual_mul_f32 v35, 0xbe3c28d5, v10
	v_dual_mul_f32 v10, 0x3f65296c, v10 :: v_dual_add_f32 v33, v33, v44
	v_fmamk_f32 v12, v11, 0xbf7ba420, v35
	s_delay_alu instid0(VALU_DEP_2) | instskip(SKIP_1) | instid1(VALU_DEP_3)
	v_fmamk_f32 v44, v11, 0x3ee437d1, v10
	v_fma_f32 v10, 0x3ee437d1, v11, -v10
	v_add_f32_e32 v12, v16, v12
	v_fmamk_f32 v16, v5, 0xbf59a7d5, v13
	s_delay_alu instid0(VALU_DEP_3) | instskip(NEXT) | instid1(VALU_DEP_2)
	v_dual_add_f32 v10, v14, v10 :: v_dual_add_f32 v45, v51, v45
	v_add_f32_e32 v14, v16, v21
	v_mul_f32_e32 v16, 0xbf7ee86f, v4
	v_fma_f32 v35, 0xbf7ba420, v11, -v35
	s_delay_alu instid0(VALU_DEP_1) | instskip(NEXT) | instid1(VALU_DEP_3)
	v_add_f32_e32 v11, v19, v35
	v_fmamk_f32 v35, v5, 0x3dbcf732, v16
	v_mul_f32_e32 v19, 0x3f65296c, v4
	s_delay_alu instid0(VALU_DEP_2) | instskip(SKIP_1) | instid1(VALU_DEP_3)
	v_add_f32_e32 v24, v35, v24
	v_fma_f32 v16, 0x3dbcf732, v5, -v16
	v_fmamk_f32 v21, v5, 0x3ee437d1, v19
	v_fma_f32 v19, 0x3ee437d1, v5, -v19
	s_delay_alu instid0(VALU_DEP_3) | instskip(SKIP_1) | instid1(VALU_DEP_3)
	v_add_f32_e32 v16, v16, v18
	v_fma_f32 v13, 0xbf59a7d5, v5, -v13
	v_add_f32_e32 v19, v19, v23
	v_dual_add_f32 v21, v21, v34 :: v_dual_mul_f32 v34, 0xbeb8f4ab, v4
	v_add_f32_e32 v7, v7, v9
	s_delay_alu instid0(VALU_DEP_4) | instskip(SKIP_1) | instid1(VALU_DEP_1)
	v_add_f32_e32 v13, v13, v17
	v_mul_f32_e32 v17, 0x3f4c4adb, v4
	v_fmamk_f32 v23, v5, 0xbf1a4643, v17
	s_delay_alu instid0(VALU_DEP_1) | instskip(SKIP_2) | instid1(VALU_DEP_3)
	v_dual_add_f32 v18, v23, v25 :: v_dual_mul_f32 v23, 0xbe3c28d5, v4
	v_fmamk_f32 v25, v5, 0x3f6eb680, v34
	v_mul_f32_e32 v9, 0xbe3c28d5, v6
	v_fmamk_f32 v35, v5, 0xbf7ba420, v23
	s_delay_alu instid0(VALU_DEP_1) | instskip(SKIP_1) | instid1(VALU_DEP_1)
	v_add_f32_e32 v26, v35, v26
	v_fma_f32 v17, 0xbf1a4643, v5, -v17
	v_add_f32_e32 v17, v17, v20
	v_fma_f32 v20, 0x3f6eb680, v5, -v34
	v_mul_f32_e32 v34, 0x3f2c7751, v4
	v_add_f32_e32 v15, v15, v44
	v_mul_f32_e32 v4, 0xbf763a35, v4
	s_delay_alu instid0(VALU_DEP_4) | instskip(NEXT) | instid1(VALU_DEP_4)
	v_add_f32_e32 v20, v20, v32
	v_fmamk_f32 v32, v5, 0x3f3d2fb0, v34
	s_delay_alu instid0(VALU_DEP_1) | instskip(SKIP_3) | instid1(VALU_DEP_1)
	v_add_f32_e32 v8, v32, v12
	v_fma_f32 v12, 0x3f3d2fb0, v5, -v34
	v_fmamk_f32 v32, v5, 0xbe8c1d8e, v4
	v_fma_f32 v4, 0xbe8c1d8e, v5, -v4
	v_add_f32_e32 v4, v4, v10
	v_fma_f32 v23, 0xbf7ba420, v5, -v23
	v_add_f32_e32 v5, v12, v11
	v_dual_mul_f32 v11, 0x3eb8f4ab, v6 :: v_dual_add_f32 v12, v32, v15
	v_mul_f32_e32 v32, 0xbf06c442, v6
	s_delay_alu instid0(VALU_DEP_2) | instskip(SKIP_1) | instid1(VALU_DEP_2)
	v_fmamk_f32 v10, v7, 0x3f6eb680, v11
	v_fma_f32 v11, 0x3f6eb680, v7, -v11
	v_dual_add_f32 v23, v23, v33 :: v_dual_add_f32 v10, v21, v10
	s_delay_alu instid0(VALU_DEP_2) | instskip(SKIP_1) | instid1(VALU_DEP_1)
	v_add_f32_e32 v11, v19, v11
	v_fma_f32 v19, 0xbf59a7d5, v7, -v32
	v_dual_mul_f32 v21, 0xbf4c4adb, v6 :: v_dual_add_f32 v16, v16, v19
	v_fmamk_f32 v15, v7, 0xbf7ba420, v9
	v_fma_f32 v9, 0xbf7ba420, v7, -v9
	s_delay_alu instid0(VALU_DEP_2) | instskip(NEXT) | instid1(VALU_DEP_2)
	v_dual_fmamk_f32 v19, v7, 0xbf1a4643, v21 :: v_dual_add_f32 v14, v14, v15
	v_add_f32_e32 v9, v13, v9
	v_fmamk_f32 v13, v7, 0xbf59a7d5, v32
	v_mul_f32_e32 v15, 0x3f2c7751, v6
	v_dual_add_f32 v25, v25, v45 :: v_dual_mul_f32 v32, 0x3f65296c, v6
	s_delay_alu instid0(VALU_DEP_2) | instskip(SKIP_1) | instid1(VALU_DEP_3)
	v_dual_add_f32 v13, v24, v13 :: v_dual_fmamk_f32 v24, v7, 0x3f3d2fb0, v15
	v_fma_f32 v15, 0x3f3d2fb0, v7, -v15
	v_add_f32_e32 v19, v25, v19
	v_mul_f32_e32 v25, 0xbf763a35, v6
	v_mul_f32_e32 v6, 0x3f7ee86f, v6
	s_delay_alu instid0(VALU_DEP_4) | instskip(SKIP_3) | instid1(VALU_DEP_3)
	v_dual_add_f32 v18, v18, v24 :: v_dual_add_f32 v15, v17, v15
	v_fma_f32 v17, 0xbf1a4643, v7, -v21
	v_fmamk_f32 v21, v7, 0x3ee437d1, v32
	v_fma_f32 v24, 0x3ee437d1, v7, -v32
	v_add_f32_e32 v17, v20, v17
	s_delay_alu instid0(VALU_DEP_2)
	v_dual_add_f32 v20, v26, v21 :: v_dual_add_f32 v21, v23, v24
	v_fmamk_f32 v23, v7, 0xbe8c1d8e, v25
	v_fma_f32 v24, 0xbe8c1d8e, v7, -v25
	v_fmamk_f32 v25, v7, 0x3dbcf732, v6
	v_fma_f32 v6, 0x3dbcf732, v7, -v6
	v_lshl_add_u32 v7, v0, 6, v22
	s_delay_alu instid0(VALU_DEP_4) | instskip(NEXT) | instid1(VALU_DEP_4)
	v_dual_add_f32 v8, v8, v23 :: v_dual_add_f32 v5, v5, v24
	v_add_f32_e32 v12, v12, v25
	s_delay_alu instid0(VALU_DEP_4)
	v_add_f32_e32 v4, v4, v6
	ds_store_2addr_b32 v7, v27, v14 offset1:1
	ds_store_2addr_b32 v7, v10, v13 offset0:2 offset1:3
	ds_store_2addr_b32 v7, v18, v19 offset0:4 offset1:5
	;; [unrolled: 1-line block ×7, first 2 shown]
	ds_store_b32 v7, v9 offset:64
.LBB0_15:
	s_wait_alu 0xfffe
	s_or_b32 exec_lo, exec_lo, s1
	v_and_b32_e32 v4, 0xff, v0
	v_add_nc_u32_e32 v16, 51, v0
	v_add_nc_u32_e32 v17, 0x66, v0
	;; [unrolled: 1-line block ×3, first 2 shown]
	global_wb scope:SCOPE_SE
	s_wait_dscnt 0x0
	v_mul_lo_u16 v4, 0xf1, v4
	v_and_b32_e32 v5, 0xff, v16
	s_barrier_signal -1
	v_and_b32_e32 v7, 0xff, v18
	s_barrier_wait -1
	v_lshrrev_b16 v21, 12, v4
	v_and_b32_e32 v4, 0xff, v17
	v_mul_lo_u16 v5, 0xf1, v5
	global_inv scope:SCOPE_SE
	v_mul_u32_u24_e32 v57, 5, v0
	v_mul_lo_u16 v6, v21, 17
	v_mul_lo_u16 v4, 0xf1, v4
	v_lshrrev_b16 v27, 12, v5
	s_delay_alu instid0(VALU_DEP_3) | instskip(SKIP_1) | instid1(VALU_DEP_4)
	v_sub_nc_u16 v5, v0, v6
	v_mul_lo_u16 v6, 0xf1, v7
	v_lshrrev_b16 v51, 12, v4
	s_delay_alu instid0(VALU_DEP_4) | instskip(NEXT) | instid1(VALU_DEP_4)
	v_mul_lo_u16 v4, v27, 17
	v_and_b32_e32 v52, 0xff, v5
	s_delay_alu instid0(VALU_DEP_4) | instskip(NEXT) | instid1(VALU_DEP_4)
	v_lshrrev_b16 v53, 12, v6
	v_mul_lo_u16 v5, v51, 17
	s_delay_alu instid0(VALU_DEP_4) | instskip(NEXT) | instid1(VALU_DEP_4)
	v_sub_nc_u16 v4, v16, v4
	v_lshlrev_b32_e32 v6, 4, v52
	s_delay_alu instid0(VALU_DEP_4) | instskip(NEXT) | instid1(VALU_DEP_4)
	v_mul_lo_u16 v8, v53, 17
	v_sub_nc_u16 v9, v17, v5
	s_delay_alu instid0(VALU_DEP_4) | instskip(SKIP_4) | instid1(VALU_DEP_3)
	v_and_b32_e32 v54, 0xff, v4
	global_load_b128 v[4:7], v6, s[4:5]
	v_sub_nc_u16 v8, v18, v8
	v_and_b32_e32 v55, 0xff, v9
	v_lshlrev_b32_e32 v9, 4, v54
	v_and_b32_e32 v56, 0xff, v8
	global_load_b128 v[8:11], v9, s[4:5]
	v_lshlrev_b32_e32 v12, 4, v55
	v_lshlrev_b32_e32 v19, 4, v56
	s_clause 0x1
	global_load_b128 v[12:15], v12, s[4:5]
	global_load_b128 v[23:26], v19, s[4:5]
	ds_load_2addr_b32 v[19:20], v22 offset1:51
	ds_load_2addr_b32 v[32:33], v22 offset0:204 offset1:255
	ds_load_2addr_b32 v[34:35], v1 offset0:152 offset1:203
	;; [unrolled: 1-line block ×5, first 2 shown]
	v_and_b32_e32 v21, 0xffff, v21
	v_and_b32_e32 v27, 0xffff, v27
	v_lshlrev_b32_e32 v52, 2, v52
	v_and_b32_e32 v51, 0xffff, v51
	global_wb scope:SCOPE_SE
	s_wait_loadcnt_dscnt 0x0
	v_mul_u32_u24_e32 v21, 0xcc, v21
	v_mul_u32_u24_e32 v27, 0xcc, v27
	s_barrier_signal -1
	v_mul_u32_u24_e32 v51, 0xcc, v51
	s_barrier_wait -1
	v_add3_u32 v21, 0, v21, v52
	v_lshlrev_b32_e32 v52, 2, v54
	global_inv scope:SCOPE_SE
	v_add3_u32 v52, 0, v27, v52
	v_mul_f32_e32 v27, v32, v5
	v_mul_f32_e32 v5, v40, v5
	s_delay_alu instid0(VALU_DEP_2) | instskip(NEXT) | instid1(VALU_DEP_2)
	v_fma_f32 v27, v40, v4, -v27
	v_dual_fmac_f32 v5, v32, v4 :: v_dual_mul_f32 v32, v35, v11
	v_mul_f32_e32 v11, v43, v11
	v_mul_f32_e32 v40, v48, v15
	s_delay_alu instid0(VALU_DEP_2) | instskip(SKIP_1) | instid1(VALU_DEP_2)
	v_dual_fmac_f32 v11, v35, v10 :: v_dual_lshlrev_b32 v54, 2, v55
	v_mul_f32_e32 v15, v36, v15
	v_add3_u32 v51, 0, v51, v54
	v_mul_f32_e32 v54, v34, v7
	v_mul_f32_e32 v7, v42, v7
	s_delay_alu instid0(VALU_DEP_4) | instskip(NEXT) | instid1(VALU_DEP_3)
	v_fmac_f32_e32 v15, v48, v14
	v_fma_f32 v4, v42, v6, -v54
	s_delay_alu instid0(VALU_DEP_3)
	v_dual_fmac_f32 v7, v34, v6 :: v_dual_mul_f32 v6, v33, v9
	v_mul_f32_e32 v9, v41, v9
	v_mul_f32_e32 v34, v46, v13
	v_dual_mul_f32 v13, v38, v13 :: v_dual_mul_f32 v42, v47, v24
	v_mul_f32_e32 v24, v39, v24
	v_mul_f32_e32 v54, v49, v26
	v_dual_mul_f32 v26, v37, v26 :: v_dual_and_b32 v53, 0xffff, v53
	v_lshlrev_b32_e32 v57, 3, v57
	v_lshlrev_b32_e32 v55, 2, v56
	v_fma_f32 v6, v41, v8, -v6
	s_delay_alu instid0(VALU_DEP_4)
	v_fmac_f32_e32 v26, v49, v25
	v_fmac_f32_e32 v9, v33, v8
	v_fma_f32 v8, v43, v10, -v32
	v_fma_f32 v10, v38, v12, -v34
	v_fmac_f32_e32 v13, v46, v12
	v_fma_f32 v12, v36, v14, -v40
	v_fma_f32 v14, v39, v23, -v42
	v_fmac_f32_e32 v24, v47, v23
	v_fma_f32 v23, v37, v25, -v54
	v_dual_add_f32 v25, v28, v27 :: v_dual_add_f32 v32, v27, v4
	v_dual_add_f32 v34, v19, v5 :: v_dual_sub_f32 v33, v5, v7
	v_add_f32_e32 v5, v5, v7
	v_sub_f32_e32 v27, v27, v4
	s_delay_alu instid0(VALU_DEP_3)
	v_dual_add_f32 v4, v25, v4 :: v_dual_add_f32 v7, v34, v7
	v_fma_f32 v25, -0.5, v32, v28
	v_add_f32_e32 v28, v6, v8
	v_sub_f32_e32 v32, v9, v11
	v_dual_add_f32 v34, v20, v9 :: v_dual_add_f32 v9, v9, v11
	v_add_f32_e32 v38, v44, v13
	v_fma_f32 v5, -0.5, v5, v19
	v_dual_add_f32 v19, v29, v6 :: v_dual_add_f32 v36, v10, v12
	v_dual_add_f32 v35, v30, v10 :: v_dual_add_f32 v42, v45, v24
	v_dual_sub_f32 v37, v13, v15 :: v_dual_sub_f32 v10, v10, v12
	v_add_f32_e32 v13, v13, v15
	v_dual_add_f32 v39, v31, v14 :: v_dual_add_f32 v40, v14, v23
	v_dual_sub_f32 v41, v24, v26 :: v_dual_sub_f32 v14, v14, v23
	v_add_f32_e32 v24, v24, v26
	v_sub_f32_e32 v6, v6, v8
	v_dual_fmac_f32 v29, -0.5, v28 :: v_dual_fmac_f32 v20, -0.5, v9
	v_add_f32_e32 v9, v35, v12
	v_fma_f32 v12, -0.5, v36, v30
	v_add_f32_e32 v11, v34, v11
	v_fma_f32 v34, -0.5, v13, v44
	v_fmac_f32_e32 v31, -0.5, v40
	v_mul_u32_u24_e32 v53, 0xcc, v53
	v_dual_fmamk_f32 v43, v33, 0x3f5db3d7, v25 :: v_dual_add_f32 v8, v19, v8
	v_fmac_f32_e32 v25, 0xbf5db3d7, v33
	v_fmamk_f32 v33, v27, 0xbf5db3d7, v5
	v_fmac_f32_e32 v45, -0.5, v24
	v_fmac_f32_e32 v5, 0x3f5db3d7, v27
	v_add_f32_e32 v19, v38, v15
	v_fmamk_f32 v15, v32, 0x3f5db3d7, v29
	v_dual_fmac_f32 v29, 0xbf5db3d7, v32 :: v_dual_fmamk_f32 v32, v6, 0xbf5db3d7, v20
	v_dual_fmac_f32 v20, 0x3f5db3d7, v6 :: v_dual_add_f32 v13, v39, v23
	v_fmamk_f32 v6, v37, 0x3f5db3d7, v12
	v_fmac_f32_e32 v12, 0xbf5db3d7, v37
	v_fmamk_f32 v36, v10, 0xbf5db3d7, v34
	v_fmac_f32_e32 v34, 0x3f5db3d7, v10
	v_fmamk_f32 v10, v41, 0x3f5db3d7, v31
	v_add3_u32 v53, 0, v53, v55
	v_add_f32_e32 v35, v42, v26
	v_fmac_f32_e32 v31, 0xbf5db3d7, v41
	v_fmamk_f32 v37, v14, 0xbf5db3d7, v45
	v_fmac_f32_e32 v45, 0x3f5db3d7, v14
	ds_store_2addr_b32 v21, v4, v43 offset1:17
	ds_store_b32 v21, v25 offset:136
	ds_store_2addr_b32 v52, v8, v15 offset1:17
	ds_store_b32 v52, v29 offset:136
	;; [unrolled: 2-line block ×4, first 2 shown]
	global_wb scope:SCOPE_SE
	s_wait_dscnt 0x0
	s_barrier_signal -1
	s_barrier_wait -1
	global_inv scope:SCOPE_SE
	ds_load_2addr_b32 v[12:13], v22 offset1:51
	ds_load_2addr_b32 v[14:15], v22 offset0:102 offset1:153
	ds_load_2addr_b32 v[23:24], v22 offset0:204 offset1:255
	;; [unrolled: 1-line block ×5, first 2 shown]
	global_wb scope:SCOPE_SE
	s_wait_dscnt 0x0
	s_barrier_signal -1
	s_barrier_wait -1
	global_inv scope:SCOPE_SE
	ds_store_2addr_b32 v21, v7, v33 offset1:17
	ds_store_b32 v21, v5 offset:136
	ds_store_2addr_b32 v52, v11, v32 offset1:17
	ds_store_b32 v52, v20 offset:136
	;; [unrolled: 2-line block ×4, first 2 shown]
	global_wb scope:SCOPE_SE
	s_wait_dscnt 0x0
	s_barrier_signal -1
	s_barrier_wait -1
	global_inv scope:SCOPE_SE
	s_clause 0x2
	global_load_b128 v[4:7], v57, s[4:5] offset:272
	global_load_b128 v[8:11], v57, s[4:5] offset:288
	global_load_b64 v[19:20], v57, s[4:5] offset:304
	ds_load_2addr_b32 v[31:32], v22 offset0:102 offset1:153
	ds_load_2addr_b32 v[33:34], v22 offset0:204 offset1:255
	ds_load_2addr_b32 v[35:36], v1 offset0:50 offset1:101
	ds_load_2addr_b32 v[37:38], v1 offset0:152 offset1:203
	ds_load_2addr_b32 v[39:40], v50 offset0:126 offset1:177
	ds_load_2addr_b32 v[41:42], v22 offset1:51
	global_wb scope:SCOPE_SE
	s_wait_loadcnt_dscnt 0x0
	s_barrier_signal -1
	s_barrier_wait -1
	global_inv scope:SCOPE_SE
	v_mul_f32_e32 v44, v33, v7
	v_mul_f32_e32 v47, v25, v9
	;; [unrolled: 1-line block ×5, first 2 shown]
	v_dual_mul_f32 v20, v30, v20 :: v_dual_mul_f32 v21, v31, v5
	v_mul_f32_e32 v46, v35, v9
	v_mul_f32_e32 v48, v37, v11
	;; [unrolled: 1-line block ×3, first 2 shown]
	s_delay_alu instid0(VALU_DEP_4)
	v_dual_fmac_f32 v20, v40, v19 :: v_dual_fmac_f32 v47, v35, v8
	v_dual_fmac_f32 v52, v39, v19 :: v_dual_mul_f32 v43, v14, v5
	v_mul_f32_e32 v53, v32, v5
	v_mul_f32_e32 v5, v15, v5
	v_fma_f32 v14, v14, v4, -v21
	v_fma_f32 v21, v23, v6, -v44
	v_mul_f32_e32 v45, v23, v7
	v_mul_f32_e32 v7, v24, v7
	v_fma_f32 v23, v25, v8, -v46
	v_fma_f32 v25, v27, v10, -v48
	v_fmac_f32_e32 v5, v32, v4
	v_sub_f32_e32 v32, v47, v52
	v_fmac_f32_e32 v43, v31, v4
	v_fmac_f32_e32 v7, v34, v6
	v_dual_mul_f32 v55, v36, v9 :: v_dual_add_f32 v34, v47, v52
	v_fma_f32 v15, v15, v4, -v53
	v_fma_f32 v4, v24, v6, -v54
	v_mul_f32_e32 v9, v26, v9
	v_mul_f32_e32 v56, v38, v11
	v_add_f32_e32 v24, v21, v25
	v_fmac_f32_e32 v45, v33, v6
	v_mul_f32_e32 v49, v27, v11
	v_fmac_f32_e32 v9, v36, v8
	s_delay_alu instid0(VALU_DEP_1) | instskip(NEXT) | instid1(VALU_DEP_1)
	v_dual_mul_f32 v11, v28, v11 :: v_dual_sub_f32 v44, v9, v20
	v_fmac_f32_e32 v11, v38, v10
	v_dual_add_f32 v35, v13, v4 :: v_dual_add_f32 v38, v42, v7
	v_fma_f32 v6, v26, v8, -v55
	v_fma_f32 v8, v28, v10, -v56
	v_add_f32_e32 v28, v41, v45
	v_fmac_f32_e32 v49, v37, v10
	v_fma_f32 v10, v30, v19, -v57
	v_add_f32_e32 v30, v14, v23
	v_add_f32_e32 v36, v4, v8
	v_sub_f32_e32 v4, v4, v8
	v_add_f32_e32 v8, v35, v8
	v_sub_f32_e32 v26, v45, v49
	v_fma_f32 v27, v29, v19, -v51
	v_add_f32_e32 v19, v12, v21
	v_fma_f32 v12, -0.5, v24, v12
	v_dual_add_f32 v24, v28, v49 :: v_dual_add_f32 v39, v15, v6
	s_delay_alu instid0(VALU_DEP_4) | instskip(NEXT) | instid1(VALU_DEP_4)
	v_dual_add_f32 v31, v23, v27 :: v_dual_add_f32 v40, v6, v10
	v_dual_sub_f32 v6, v6, v10 :: v_dual_add_f32 v19, v19, v25
	s_delay_alu instid0(VALU_DEP_2) | instskip(SKIP_3) | instid1(VALU_DEP_2)
	v_dual_fmac_f32 v14, -0.5, v31 :: v_dual_add_f32 v29, v45, v49
	v_add_f32_e32 v45, v5, v9
	v_add_f32_e32 v9, v9, v20
	v_fmac_f32_e32 v15, -0.5, v40
	v_dual_add_f32 v20, v45, v20 :: v_dual_fmac_f32 v5, -0.5, v9
	v_sub_f32_e32 v37, v7, v11
	v_add_f32_e32 v7, v7, v11
	v_fmamk_f32 v9, v26, 0x3f5db3d7, v12
	v_fmac_f32_e32 v12, 0xbf5db3d7, v26
	s_delay_alu instid0(VALU_DEP_3) | instskip(SKIP_4) | instid1(VALU_DEP_4)
	v_fmac_f32_e32 v42, -0.5, v7
	v_add_f32_e32 v33, v43, v47
	v_sub_f32_e32 v23, v23, v27
	v_add_f32_e32 v27, v30, v27
	v_fmamk_f32 v30, v6, 0xbf5db3d7, v5
	v_dual_fmac_f32 v5, 0x3f5db3d7, v6 :: v_dual_add_f32 v28, v33, v52
	v_sub_f32_e32 v21, v21, v25
	v_fma_f32 v25, -0.5, v29, v41
	s_delay_alu instid0(VALU_DEP_3) | instskip(NEXT) | instid1(VALU_DEP_4)
	v_dual_add_f32 v29, v38, v11 :: v_dual_mul_f32 v38, -0.5, v5
	v_add_f32_e32 v26, v24, v28
	v_sub_f32_e32 v24, v24, v28
	v_fmamk_f32 v28, v4, 0xbf5db3d7, v42
	v_fmac_f32_e32 v42, 0x3f5db3d7, v4
	v_fmamk_f32 v4, v44, 0x3f5db3d7, v15
	v_fmac_f32_e32 v15, 0xbf5db3d7, v44
	v_dual_add_f32 v7, v39, v10 :: v_dual_fmamk_f32 v10, v21, 0xbf5db3d7, v25
	v_fmamk_f32 v11, v32, 0x3f5db3d7, v14
	v_fmac_f32_e32 v14, 0xbf5db3d7, v32
	v_fmac_f32_e32 v25, 0x3f5db3d7, v21
	;; [unrolled: 1-line block ×3, first 2 shown]
	v_add_f32_e32 v6, v8, v7
	s_delay_alu instid0(VALU_DEP_4) | instskip(SKIP_3) | instid1(VALU_DEP_3)
	v_dual_sub_f32 v7, v8, v7 :: v_dual_mul_f32 v32, -0.5, v14
	v_dual_fmac_f32 v13, -0.5, v36 :: v_dual_mul_f32 v36, -0.5, v15
	v_fmac_f32_e32 v43, -0.5, v34
	v_mul_f32_e32 v33, 0xbf5db3d7, v11
	v_dual_mul_f32 v35, 0x3f5db3d7, v30 :: v_dual_fmac_f32 v36, 0x3f5db3d7, v5
	s_delay_alu instid0(VALU_DEP_3) | instskip(SKIP_1) | instid1(VALU_DEP_1)
	v_fmamk_f32 v21, v23, 0xbf5db3d7, v43
	v_fmac_f32_e32 v43, 0x3f5db3d7, v23
	v_dual_fmac_f32 v35, 0.5, v4 :: v_dual_mul_f32 v34, -0.5, v43
	v_fmac_f32_e32 v32, 0x3f5db3d7, v43
	s_delay_alu instid0(VALU_DEP_2) | instskip(SKIP_3) | instid1(VALU_DEP_2)
	v_dual_fmac_f32 v34, 0xbf5db3d7, v14 :: v_dual_add_f32 v31, v29, v20
	v_sub_f32_e32 v20, v29, v20
	v_mul_f32_e32 v8, 0x3f5db3d7, v21
	v_fmac_f32_e32 v33, 0.5, v21
	v_dual_add_f32 v5, v12, v32 :: v_dual_fmac_f32 v8, 0.5, v11
	v_add_f32_e32 v23, v19, v27
	v_sub_f32_e32 v19, v19, v27
	v_fmamk_f32 v27, v37, 0x3f5db3d7, v13
	v_fmac_f32_e32 v13, 0xbf5db3d7, v37
	v_mul_f32_e32 v37, 0xbf5db3d7, v4
	v_add_f32_e32 v4, v9, v8
	v_sub_f32_e32 v8, v9, v8
	v_dual_sub_f32 v9, v12, v32 :: v_dual_sub_f32 v12, v27, v35
	v_add_f32_e32 v21, v10, v33
	v_sub_f32_e32 v32, v10, v33
	v_dual_add_f32 v10, v27, v35 :: v_dual_add_f32 v11, v13, v36
	v_sub_f32_e32 v13, v13, v36
	ds_store_2addr_b32 v22, v23, v4 offset1:51
	ds_store_2addr_b32 v22, v5, v19 offset0:102 offset1:153
	ds_store_2addr_b32 v22, v8, v9 offset0:204 offset1:255
	;; [unrolled: 1-line block ×5, first 2 shown]
	global_wb scope:SCOPE_SE
	s_wait_dscnt 0x0
	s_barrier_signal -1
	s_barrier_wait -1
	global_inv scope:SCOPE_SE
	ds_load_2addr_b32 v[4:5], v22 offset1:51
	ds_load_2addr_b32 v[10:11], v1 offset0:50 offset1:101
	ds_load_2addr_b32 v[6:7], v22 offset0:102 offset1:153
	;; [unrolled: 1-line block ×5, first 2 shown]
	v_fmac_f32_e32 v37, 0.5, v30
	v_add_f32_e32 v30, v25, v34
	v_sub_f32_e32 v25, v25, v34
	v_add_f32_e32 v23, v42, v38
	global_wb scope:SCOPE_SE
	s_wait_dscnt 0x0
	v_add_f32_e32 v19, v28, v37
	v_dual_sub_f32 v27, v28, v37 :: v_dual_sub_f32 v28, v42, v38
	s_barrier_signal -1
	s_barrier_wait -1
	global_inv scope:SCOPE_SE
	ds_store_2addr_b32 v22, v26, v21 offset1:51
	ds_store_2addr_b32 v22, v30, v24 offset0:102 offset1:153
	ds_store_2addr_b32 v22, v32, v25 offset0:204 offset1:255
	;; [unrolled: 1-line block ×5, first 2 shown]
	global_wb scope:SCOPE_SE
	s_wait_dscnt 0x0
	s_barrier_signal -1
	s_barrier_wait -1
	global_inv scope:SCOPE_SE
	s_and_saveexec_b32 s0, vcc_lo
	s_cbranch_execz .LBB0_17
; %bb.16:
	v_dual_mov_b32 v1, 0 :: v_dual_add_nc_u32 v60, 0x132, v0
	v_mad_co_u64_u32 v[37:38], null, s8, v0, 0
	v_add_nc_u32_e32 v62, 0x198, v0
	s_delay_alu instid0(VALU_DEP_3) | instskip(NEXT) | instid1(VALU_DEP_4)
	v_lshlrev_b64_e32 v[19:20], 3, v[0:1]
	v_mad_co_u64_u32 v[49:50], null, s8, v60, 0
	v_add_nc_u32_e32 v61, 0x165, v0
	v_add_nc_u32_e32 v63, 0x1cb, v0
	;; [unrolled: 1-line block ×3, first 2 shown]
	v_add_co_u32 v19, vcc_lo, s4, v19
	s_wait_alu 0xfffd
	v_add_co_ci_u32_e32 v20, vcc_lo, s5, v20, vcc_lo
	v_add_co_u32 v67, vcc_lo, s10, v2
	s_wait_alu 0xfffd
	v_add_co_ci_u32_e32 v68, vcc_lo, s11, v3, vcc_lo
	s_clause 0x5
	global_load_b64 v[23:24], v[19:20], off offset:4352
	global_load_b64 v[25:26], v[19:20], off offset:3944
	;; [unrolled: 1-line block ×6, first 2 shown]
	v_mov_b32_e32 v3, v38
	v_mad_co_u64_u32 v[1:2], null, s8, v16, 0
	v_mad_co_u64_u32 v[39:40], null, s8, v17, 0
	s_delay_alu instid0(VALU_DEP_3)
	v_mad_co_u64_u32 v[57:58], null, s9, v0, v[3:4]
	v_dual_mov_b32 v0, v50 :: v_dual_add_nc_u32 v65, 0xff, v0
	v_mad_co_u64_u32 v[51:52], null, s8, v61, 0
	v_mad_co_u64_u32 v[2:3], null, s9, v16, v[2:3]
	v_dual_mov_b32 v38, v40 :: v_dual_add_nc_u32 v43, 0x600, v22
	v_mad_co_u64_u32 v[41:42], null, s8, v18, 0
	s_delay_alu instid0(VALU_DEP_4) | instskip(SKIP_1) | instid1(VALU_DEP_4)
	v_mov_b32_e32 v3, v52
	v_mul_hi_u32 v66, 0xd62b80d7, v64
	v_mad_co_u64_u32 v[16:17], null, s9, v17, v[38:39]
	v_add_nc_u32_e32 v47, 0x400, v22
	v_mad_co_u64_u32 v[53:54], null, s8, v62, 0
	v_mov_b32_e32 v40, v42
	v_mad_co_u64_u32 v[55:56], null, s8, v63, 0
	v_lshrrev_b32_e32 v38, 8, v66
	ds_load_2addr_b32 v[33:34], v22 offset0:204 offset1:255
	v_mad_co_u64_u32 v[58:59], null, s9, v18, v[40:41]
	v_mov_b32_e32 v17, v54
	v_mad_u32_u24 v64, 0x132, v38, v64
	v_mov_b32_e32 v38, v57
	v_mul_hi_u32 v69, 0xd62b80d7, v65
	v_mov_b32_e32 v18, v56
	v_mad_co_u64_u32 v[59:60], null, s9, v60, v[0:1]
	v_mad_co_u64_u32 v[60:61], null, s9, v61, v[3:4]
	ds_load_2addr_b32 v[35:36], v22 offset0:102 offset1:153
	ds_load_2addr_b32 v[21:22], v22 offset1:51
	v_lshrrev_b32_e32 v40, 8, v69
	ds_load_2addr_b32 v[43:44], v43 offset0:126 offset1:177
	ds_load_2addr_b32 v[45:46], v47 offset0:152 offset1:203
	;; [unrolled: 1-line block ×3, first 2 shown]
	v_mov_b32_e32 v50, v59
	v_lshlrev_b64_e32 v[0:1], 3, v[1:2]
	v_mov_b32_e32 v52, v60
	v_mad_u32_u24 v65, 0x132, v40, v65
	v_mov_b32_e32 v42, v58
	v_mad_co_u64_u32 v[57:58], null, s8, v64, 0
	s_delay_alu instid0(VALU_DEP_3) | instskip(SKIP_2) | instid1(VALU_DEP_3)
	v_dual_mov_b32 v40, v16 :: v_dual_add_nc_u32 v69, 0x132, v65
	v_mad_co_u64_u32 v[61:62], null, s9, v62, v[17:18]
	v_lshlrev_b64_e32 v[37:38], 3, v[37:38]
	v_lshlrev_b64_e32 v[2:3], 3, v[39:40]
	;; [unrolled: 1-line block ×3, first 2 shown]
	v_mad_co_u64_u32 v[41:42], null, s8, v69, 0
	v_mov_b32_e32 v54, v61
	v_add_co_u32 v37, vcc_lo, v67, v37
	s_wait_alu 0xfffd
	v_add_co_ci_u32_e32 v38, vcc_lo, v68, v38, vcc_lo
	v_add_co_u32 v0, vcc_lo, v67, v0
	s_wait_alu 0xfffd
	v_add_co_ci_u32_e32 v1, vcc_lo, v68, v1, vcc_lo
	;; [unrolled: 3-line block ×4, first 2 shown]
	s_wait_loadcnt 0x0
	v_mad_co_u64_u32 v[17:18], null, s9, v63, v[18:19]
	v_mad_co_u64_u32 v[62:63], null, s8, v65, 0
	v_mov_b32_e32 v18, v58
	s_delay_alu instid0(VALU_DEP_3) | instskip(NEXT) | instid1(VALU_DEP_2)
	v_mov_b32_e32 v56, v17
	v_mad_co_u64_u32 v[59:60], null, s9, v64, v[18:19]
	s_delay_alu instid0(VALU_DEP_4) | instskip(SKIP_1) | instid1(VALU_DEP_2)
	v_mov_b32_e32 v58, v63
	v_mov_b32_e32 v18, v42
	v_mad_co_u64_u32 v[60:61], null, s9, v65, v[58:59]
	v_dual_mul_f32 v61, v14, v26 :: v_dual_add_nc_u32 v66, 0x132, v64
	v_lshlrev_b64_e32 v[51:52], 3, v[51:52]
	s_wait_dscnt 0x2
	s_delay_alu instid0(VALU_DEP_3) | instskip(NEXT) | instid1(VALU_DEP_3)
	v_dual_mul_f32 v26, v43, v26 :: v_dual_mov_b32 v63, v60
	v_mad_co_u64_u32 v[16:17], null, s8, v66, 0
	v_fmac_f32_e32 v61, v43, v25
	s_delay_alu instid0(VALU_DEP_3) | instskip(NEXT) | instid1(VALU_DEP_3)
	v_fma_f32 v14, v14, v25, -v26
	v_mad_co_u64_u32 v[64:65], null, s9, v66, v[17:18]
	v_mad_co_u64_u32 v[65:66], null, s9, v69, v[18:19]
	s_delay_alu instid0(VALU_DEP_2) | instskip(SKIP_1) | instid1(VALU_DEP_2)
	v_dual_mul_f32 v18, v15, v24 :: v_dual_mov_b32 v17, v64
	v_lshlrev_b64_e32 v[49:50], 3, v[49:50]
	v_fmac_f32_e32 v18, v44, v23
	v_mov_b32_e32 v58, v59
	v_lshlrev_b64_e32 v[59:60], 3, v[62:63]
	v_dual_mul_f32 v62, v13, v28 :: v_dual_mul_f32 v63, v12, v30
	v_lshlrev_b64_e32 v[53:54], 3, v[53:54]
	v_add_co_u32 v49, vcc_lo, v67, v49
	s_wait_dscnt 0x1
	s_delay_alu instid0(VALU_DEP_3)
	v_fmac_f32_e32 v62, v46, v27
	v_dual_mov_b32 v42, v65 :: v_dual_mul_f32 v65, v10, v20
	s_wait_dscnt 0x0
	v_mul_f32_e32 v20, v47, v20
	v_mul_f32_e32 v64, v11, v32
	;; [unrolled: 1-line block ×3, first 2 shown]
	s_wait_alu 0xfffd
	v_add_co_ci_u32_e32 v50, vcc_lo, v68, v50, vcc_lo
	v_lshlrev_b64_e32 v[55:56], 3, v[55:56]
	v_add_co_u32 v51, vcc_lo, v67, v51
	v_dual_mul_f32 v28, v46, v28 :: v_dual_fmac_f32 v63, v45, v29
	v_mul_f32_e32 v24, v44, v24
	s_wait_alu 0xfffd
	v_add_co_ci_u32_e32 v52, vcc_lo, v68, v52, vcc_lo
	v_fma_f32 v20, v10, v19, -v20
	v_mul_f32_e32 v30, v45, v30
	v_add_co_u32 v53, vcc_lo, v67, v53
	v_fma_f32 v25, v11, v31, -v32
	v_sub_f32_e32 v11, v34, v18
	v_lshlrev_b64_e32 v[57:58], 3, v[57:58]
	s_wait_alu 0xfffd
	v_add_co_ci_u32_e32 v54, vcc_lo, v68, v54, vcc_lo
	v_fmac_f32_e32 v65, v47, v19
	v_sub_f32_e32 v19, v35, v63
	v_fma_f32 v15, v15, v23, -v24
	v_fma_f32 v23, v13, v27, -v28
	v_add_co_u32 v55, vcc_lo, v67, v55
	v_fma_f32 v24, v12, v29, -v30
	v_fmac_f32_e32 v64, v48, v31
	s_wait_alu 0xfffd
	v_add_co_ci_u32_e32 v56, vcc_lo, v68, v56, vcc_lo
	v_lshlrev_b64_e32 v[16:17], 3, v[16:17]
	v_add_co_u32 v57, vcc_lo, v67, v57
	v_sub_f32_e32 v12, v8, v14
	v_dual_sub_f32 v14, v7, v23 :: v_dual_sub_f32 v23, v5, v25
	v_dual_sub_f32 v25, v4, v20 :: v_dual_sub_f32 v26, v21, v65
	s_wait_alu 0xfffd
	v_add_co_ci_u32_e32 v58, vcc_lo, v68, v58, vcc_lo
	v_add_co_u32 v59, vcc_lo, v67, v59
	v_dual_sub_f32 v10, v9, v15 :: v_dual_sub_f32 v15, v36, v62
	v_lshlrev_b64_e32 v[41:42], 3, v[41:42]
	v_sub_f32_e32 v18, v6, v24
	v_sub_f32_e32 v24, v22, v64
	s_wait_alu 0xfffd
	v_add_co_ci_u32_e32 v60, vcc_lo, v68, v60, vcc_lo
	v_add_co_u32 v16, vcc_lo, v67, v16
	v_sub_f32_e32 v13, v33, v61
	v_fma_f32 v21, v21, 2.0, -v26
	v_fma_f32 v20, v4, 2.0, -v25
	s_wait_alu 0xfffd
	v_add_co_ci_u32_e32 v17, vcc_lo, v68, v17, vcc_lo
	v_fma_f32 v32, v22, 2.0, -v24
	v_fma_f32 v31, v5, 2.0, -v23
	v_add_co_u32 v41, vcc_lo, v67, v41
	v_fma_f32 v5, v35, 2.0, -v19
	v_fma_f32 v4, v6, 2.0, -v18
	s_wait_alu 0xfffd
	v_add_co_ci_u32_e32 v42, vcc_lo, v68, v42, vcc_lo
	v_fma_f32 v28, v34, 2.0, -v11
	v_fma_f32 v27, v9, 2.0, -v10
	;; [unrolled: 1-line block ×6, first 2 shown]
	s_clause 0xb
	global_store_b64 v[37:38], v[20:21], off
	global_store_b64 v[49:50], v[25:26], off
	;; [unrolled: 1-line block ×12, first 2 shown]
.LBB0_17:
	s_nop 0
	s_sendmsg sendmsg(MSG_DEALLOC_VGPRS)
	s_endpgm
	.section	.rodata,"a",@progbits
	.p2align	6, 0x0
	.amdhsa_kernel fft_rtc_fwd_len612_factors_17_3_6_2_wgs_51_tpt_51_halfLds_sp_ip_CI_sbrr_dirReg
		.amdhsa_group_segment_fixed_size 0
		.amdhsa_private_segment_fixed_size 0
		.amdhsa_kernarg_size 88
		.amdhsa_user_sgpr_count 2
		.amdhsa_user_sgpr_dispatch_ptr 0
		.amdhsa_user_sgpr_queue_ptr 0
		.amdhsa_user_sgpr_kernarg_segment_ptr 1
		.amdhsa_user_sgpr_dispatch_id 0
		.amdhsa_user_sgpr_private_segment_size 0
		.amdhsa_wavefront_size32 1
		.amdhsa_uses_dynamic_stack 0
		.amdhsa_enable_private_segment 0
		.amdhsa_system_sgpr_workgroup_id_x 1
		.amdhsa_system_sgpr_workgroup_id_y 0
		.amdhsa_system_sgpr_workgroup_id_z 0
		.amdhsa_system_sgpr_workgroup_info 0
		.amdhsa_system_vgpr_workitem_id 0
		.amdhsa_next_free_vgpr 75
		.amdhsa_next_free_sgpr 35
		.amdhsa_reserve_vcc 1
		.amdhsa_float_round_mode_32 0
		.amdhsa_float_round_mode_16_64 0
		.amdhsa_float_denorm_mode_32 3
		.amdhsa_float_denorm_mode_16_64 3
		.amdhsa_fp16_overflow 0
		.amdhsa_workgroup_processor_mode 1
		.amdhsa_memory_ordered 1
		.amdhsa_forward_progress 0
		.amdhsa_round_robin_scheduling 0
		.amdhsa_exception_fp_ieee_invalid_op 0
		.amdhsa_exception_fp_denorm_src 0
		.amdhsa_exception_fp_ieee_div_zero 0
		.amdhsa_exception_fp_ieee_overflow 0
		.amdhsa_exception_fp_ieee_underflow 0
		.amdhsa_exception_fp_ieee_inexact 0
		.amdhsa_exception_int_div_zero 0
	.end_amdhsa_kernel
	.text
.Lfunc_end0:
	.size	fft_rtc_fwd_len612_factors_17_3_6_2_wgs_51_tpt_51_halfLds_sp_ip_CI_sbrr_dirReg, .Lfunc_end0-fft_rtc_fwd_len612_factors_17_3_6_2_wgs_51_tpt_51_halfLds_sp_ip_CI_sbrr_dirReg
                                        ; -- End function
	.section	.AMDGPU.csdata,"",@progbits
; Kernel info:
; codeLenInByte = 11952
; NumSgprs: 37
; NumVgprs: 75
; ScratchSize: 0
; MemoryBound: 0
; FloatMode: 240
; IeeeMode: 1
; LDSByteSize: 0 bytes/workgroup (compile time only)
; SGPRBlocks: 4
; VGPRBlocks: 9
; NumSGPRsForWavesPerEU: 37
; NumVGPRsForWavesPerEU: 75
; Occupancy: 16
; WaveLimiterHint : 1
; COMPUTE_PGM_RSRC2:SCRATCH_EN: 0
; COMPUTE_PGM_RSRC2:USER_SGPR: 2
; COMPUTE_PGM_RSRC2:TRAP_HANDLER: 0
; COMPUTE_PGM_RSRC2:TGID_X_EN: 1
; COMPUTE_PGM_RSRC2:TGID_Y_EN: 0
; COMPUTE_PGM_RSRC2:TGID_Z_EN: 0
; COMPUTE_PGM_RSRC2:TIDIG_COMP_CNT: 0
	.text
	.p2alignl 7, 3214868480
	.fill 96, 4, 3214868480
	.type	__hip_cuid_889af4363e57f7e3,@object ; @__hip_cuid_889af4363e57f7e3
	.section	.bss,"aw",@nobits
	.globl	__hip_cuid_889af4363e57f7e3
__hip_cuid_889af4363e57f7e3:
	.byte	0                               ; 0x0
	.size	__hip_cuid_889af4363e57f7e3, 1

	.ident	"AMD clang version 19.0.0git (https://github.com/RadeonOpenCompute/llvm-project roc-6.4.0 25133 c7fe45cf4b819c5991fe208aaa96edf142730f1d)"
	.section	".note.GNU-stack","",@progbits
	.addrsig
	.addrsig_sym __hip_cuid_889af4363e57f7e3
	.amdgpu_metadata
---
amdhsa.kernels:
  - .args:
      - .actual_access:  read_only
        .address_space:  global
        .offset:         0
        .size:           8
        .value_kind:     global_buffer
      - .offset:         8
        .size:           8
        .value_kind:     by_value
      - .actual_access:  read_only
        .address_space:  global
        .offset:         16
        .size:           8
        .value_kind:     global_buffer
      - .actual_access:  read_only
        .address_space:  global
        .offset:         24
        .size:           8
        .value_kind:     global_buffer
      - .offset:         32
        .size:           8
        .value_kind:     by_value
      - .actual_access:  read_only
        .address_space:  global
        .offset:         40
        .size:           8
        .value_kind:     global_buffer
      - .actual_access:  read_only
        .address_space:  global
        .offset:         48
        .size:           8
        .value_kind:     global_buffer
      - .offset:         56
        .size:           4
        .value_kind:     by_value
      - .actual_access:  read_only
        .address_space:  global
        .offset:         64
        .size:           8
        .value_kind:     global_buffer
      - .actual_access:  read_only
        .address_space:  global
        .offset:         72
        .size:           8
        .value_kind:     global_buffer
      - .address_space:  global
        .offset:         80
        .size:           8
        .value_kind:     global_buffer
    .group_segment_fixed_size: 0
    .kernarg_segment_align: 8
    .kernarg_segment_size: 88
    .language:       OpenCL C
    .language_version:
      - 2
      - 0
    .max_flat_workgroup_size: 51
    .name:           fft_rtc_fwd_len612_factors_17_3_6_2_wgs_51_tpt_51_halfLds_sp_ip_CI_sbrr_dirReg
    .private_segment_fixed_size: 0
    .sgpr_count:     37
    .sgpr_spill_count: 0
    .symbol:         fft_rtc_fwd_len612_factors_17_3_6_2_wgs_51_tpt_51_halfLds_sp_ip_CI_sbrr_dirReg.kd
    .uniform_work_group_size: 1
    .uses_dynamic_stack: false
    .vgpr_count:     75
    .vgpr_spill_count: 0
    .wavefront_size: 32
    .workgroup_processor_mode: 1
amdhsa.target:   amdgcn-amd-amdhsa--gfx1201
amdhsa.version:
  - 1
  - 2
...

	.end_amdgpu_metadata
